;; amdgpu-corpus repo=ROCm/rocFFT kind=compiled arch=gfx1100 opt=O3
	.text
	.amdgcn_target "amdgcn-amd-amdhsa--gfx1100"
	.amdhsa_code_object_version 6
	.protected	bluestein_single_fwd_len1365_dim1_dp_op_CI_CI ; -- Begin function bluestein_single_fwd_len1365_dim1_dp_op_CI_CI
	.globl	bluestein_single_fwd_len1365_dim1_dp_op_CI_CI
	.p2align	8
	.type	bluestein_single_fwd_len1365_dim1_dp_op_CI_CI,@function
bluestein_single_fwd_len1365_dim1_dp_op_CI_CI: ; @bluestein_single_fwd_len1365_dim1_dp_op_CI_CI
; %bb.0:
	s_load_b128 s[16:19], s[0:1], 0x28
	v_mul_u32_u24_e32 v1, 0x2d1, v0
	v_mov_b32_e32 v9, 0
	s_mov_b32 s2, exec_lo
	s_delay_alu instid0(VALU_DEP_2) | instskip(NEXT) | instid1(VALU_DEP_1)
	v_lshrrev_b32_e32 v3, 16, v1
	v_lshl_add_u32 v8, s15, 1, v3
	s_waitcnt lgkmcnt(0)
	s_delay_alu instid0(VALU_DEP_1)
	v_cmpx_gt_u64_e64 s[16:17], v[8:9]
	s_cbranch_execz .LBB0_23
; %bb.1:
	s_clause 0x1
	s_load_b128 s[4:7], s[0:1], 0x18
	s_load_b64 s[2:3], s[0:1], 0x0
	v_mul_lo_u16 v1, 0x5b, v3
	v_dual_mov_b32 v6, v8 :: v_dual_and_b32 v3, 1, v3
	s_delay_alu instid0(VALU_DEP_2) | instskip(NEXT) | instid1(VALU_DEP_1)
	v_sub_nc_u16 v2, v0, v1
	v_and_b32_e32 v134, 0xffff, v2
	s_delay_alu instid0(VALU_DEP_1)
	v_lshlrev_b32_e32 v110, 4, v134
	s_waitcnt lgkmcnt(0)
	s_load_b128 s[8:11], s[4:5], 0x0
	s_clause 0x1
	global_load_b128 v[127:130], v110, s[2:3]
	global_load_b128 v[143:146], v110, s[2:3] offset:1680
	v_add_co_u32 v16, s4, s2, v110
	s_delay_alu instid0(VALU_DEP_1) | instskip(NEXT) | instid1(VALU_DEP_2)
	v_add_co_ci_u32_e64 v17, null, s3, 0, s4
	v_add_co_u32 v12, vcc_lo, 0x1000, v16
	s_delay_alu instid0(VALU_DEP_2)
	v_add_co_ci_u32_e32 v13, vcc_lo, 0, v17, vcc_lo
	s_clause 0x1
	scratch_store_b64 off, v[16:17], off offset:4
	scratch_store_b64 off, v[6:7], off offset:48
	v_add_co_u32 v10, vcc_lo, 0x2000, v16
	scratch_store_b64 off, v[12:13], off offset:40 ; 8-byte Folded Spill
	v_add_co_ci_u32_e32 v11, vcc_lo, 0, v17, vcc_lo
	v_add_co_u32 v14, vcc_lo, 0x3000, v16
	s_waitcnt lgkmcnt(0)
	v_mad_u64_u32 v[0:1], null, s10, v8, 0
	v_mad_u64_u32 v[4:5], null, s8, v134, 0
	v_add_co_ci_u32_e32 v15, vcc_lo, 0, v17, vcc_lo
	v_add_co_u32 v54, vcc_lo, 0x4000, v16
	s_delay_alu instid0(VALU_DEP_4) | instskip(NEXT) | instid1(VALU_DEP_4)
	v_mad_u64_u32 v[6:7], null, s11, v8, v[1:2]
	v_mov_b32_e32 v1, v5
	v_add_co_ci_u32_e32 v55, vcc_lo, 0, v17, vcc_lo
	s_mul_hi_u32 s4, s8, 0x69
	global_load_b128 v[155:158], v[12:13], off offset:2624
	v_mad_u64_u32 v[7:8], null, s9, v134, v[1:2]
	v_mov_b32_e32 v1, v6
	s_clause 0x1
	global_load_b128 v[123:126], v110, s[2:3] offset:3360
	global_load_b128 v[163:166], v[12:13], off offset:944
	s_mul_i32 s3, s9, 0x69
	s_mul_i32 s2, s8, 0x69
	v_lshlrev_b64 v[0:1], 4, v[0:1]
	v_mov_b32_e32 v5, v7
	s_add_i32 s3, s4, s3
	s_clause 0x1
	global_load_b128 v[159:162], v[10:11], off offset:208
	global_load_b128 v[151:154], v[10:11], off offset:1888
	s_lshl_b64 s[12:13], s[2:3], 4
	scratch_store_b64 off, v[10:11], off offset:24 ; 8-byte Folded Spill
	v_lshlrev_b64 v[4:5], 4, v[4:5]
	v_add_co_u32 v0, vcc_lo, s18, v0
	v_add_co_ci_u32_e32 v1, vcc_lo, s19, v1, vcc_lo
	s_clause 0x1
	global_load_b128 v[147:150], v[10:11], off offset:3568
	global_load_b128 v[139:142], v[14:15], off offset:1152
	v_add_co_u32 v0, vcc_lo, v0, v4
	v_add_co_ci_u32_e32 v1, vcc_lo, v1, v5, vcc_lo
	scratch_store_b64 off, v[14:15], off offset:32 ; 8-byte Folded Spill
	v_add_co_u32 v8, vcc_lo, v0, s12
	v_add_co_ci_u32_e32 v9, vcc_lo, s13, v1, vcc_lo
	s_clause 0x1
	global_load_b128 v[135:138], v[14:15], off offset:2832
	global_load_b128 v[119:122], v[54:55], off offset:416
	v_add_co_u32 v12, vcc_lo, v8, s12
	v_add_co_ci_u32_e32 v13, vcc_lo, s13, v9, vcc_lo
	s_clause 0x1
	global_load_b128 v[4:7], v[0:1], off
	global_load_b128 v[8:11], v[8:9], off
	v_add_co_u32 v16, vcc_lo, v12, s12
	v_add_co_ci_u32_e32 v17, vcc_lo, s13, v13, vcc_lo
	s_delay_alu instid0(VALU_DEP_2) | instskip(NEXT) | instid1(VALU_DEP_2)
	v_add_co_u32 v20, vcc_lo, v16, s12
	v_add_co_ci_u32_e32 v21, vcc_lo, s13, v17, vcc_lo
	s_clause 0x1
	global_load_b128 v[12:15], v[12:13], off
	global_load_b128 v[16:19], v[16:17], off
	v_add_co_u32 v0, vcc_lo, v20, s12
	v_add_co_ci_u32_e32 v1, vcc_lo, s13, v21, vcc_lo
	global_load_b128 v[20:23], v[20:21], off
	v_add_co_u32 v28, vcc_lo, v0, s12
	v_add_co_ci_u32_e32 v29, vcc_lo, s13, v1, vcc_lo
	;; [unrolled: 3-line block ×7, first 2 shown]
	s_delay_alu instid0(VALU_DEP_2) | instskip(NEXT) | instid1(VALU_DEP_2)
	v_add_co_u32 v0, vcc_lo, v50, s12
	v_add_co_ci_u32_e32 v1, vcc_lo, s13, v51, vcc_lo
	global_load_b128 v[46:49], v[46:47], off
	global_load_b128 v[50:53], v[50:51], off
	global_load_b128 v[115:118], v[54:55], off offset:2096
	scratch_store_b64 off, v[54:55], off offset:16 ; 8-byte Folded Spill
	global_load_b128 v[111:114], v[54:55], off offset:3776
	global_load_b128 v[54:57], v[0:1], off
	v_cmp_eq_u32_e32 vcc_lo, 1, v3
	v_cndmask_b32_e64 v3, 0, 0x555, vcc_lo
	v_cmp_gt_u16_e32 vcc_lo, 14, v2
	s_delay_alu instid0(VALU_DEP_2) | instskip(NEXT) | instid1(VALU_DEP_1)
	v_lshlrev_b32_e32 v201, 4, v3
	v_add_nc_u32_e32 v182, v201, v110
	s_waitcnt vmcnt(25)
	scratch_store_b128 off, v[127:130], off offset:120 ; 16-byte Folded Spill
	s_waitcnt vmcnt(24)
	scratch_store_b128 off, v[143:146], off offset:168 ; 16-byte Folded Spill
	;; [unrolled: 2-line block ×11, first 2 shown]
	s_waitcnt vmcnt(14)
	v_mul_f64 v[58:59], v[6:7], v[129:130]
	v_mul_f64 v[60:61], v[4:5], v[129:130]
	s_waitcnt vmcnt(13)
	v_mul_f64 v[62:63], v[10:11], v[145:146]
	v_mul_f64 v[64:65], v[8:9], v[145:146]
	;; [unrolled: 3-line block ×9, first 2 shown]
	v_fma_f64 v[4:5], v[4:5], v[127:128], v[58:59]
	v_fma_f64 v[6:7], v[6:7], v[127:128], -v[60:61]
	v_fma_f64 v[8:9], v[8:9], v[143:144], v[62:63]
	s_waitcnt vmcnt(5)
	v_mul_f64 v[94:95], v[42:43], v[137:138]
	v_mul_f64 v[96:97], v[40:41], v[137:138]
	v_fma_f64 v[10:11], v[10:11], v[143:144], -v[64:65]
	v_fma_f64 v[12:13], v[12:13], v[123:124], v[66:67]
	s_waitcnt vmcnt(4)
	v_mul_f64 v[98:99], v[48:49], v[121:122]
	v_mul_f64 v[100:101], v[46:47], v[121:122]
	s_waitcnt vmcnt(2)
	v_mul_f64 v[102:103], v[52:53], v[117:118]
	v_mul_f64 v[104:105], v[50:51], v[117:118]
	;; [unrolled: 3-line block ×3, first 2 shown]
	v_fma_f64 v[14:15], v[14:15], v[123:124], -v[68:69]
	v_fma_f64 v[16:17], v[16:17], v[163:164], v[70:71]
	v_fma_f64 v[18:19], v[18:19], v[163:164], -v[72:73]
	v_fma_f64 v[20:21], v[20:21], v[155:156], v[74:75]
	;; [unrolled: 2-line block ×3, first 2 shown]
	v_fma_f64 v[26:27], v[26:27], v[159:160], -v[80:81]
	s_clause 0x1
	scratch_store_b128 off, v[115:118], off offset:72
	scratch_store_b128 off, v[111:114], off offset:56
	v_fma_f64 v[28:29], v[28:29], v[151:152], v[82:83]
	v_fma_f64 v[30:31], v[30:31], v[151:152], -v[84:85]
	s_load_b64 s[10:11], s[0:1], 0x38
	s_load_b128 s[4:7], s[6:7], 0x0
	v_fma_f64 v[32:33], v[32:33], v[147:148], v[86:87]
	v_fma_f64 v[34:35], v[34:35], v[147:148], -v[88:89]
	ds_store_b128 v182, v[4:7]
	ds_store_b128 v182, v[8:11] offset:1680
	ds_store_b128 v182, v[12:15] offset:3360
	ds_store_b128 v182, v[16:19] offset:5040
	ds_store_b128 v182, v[20:23] offset:6720
	ds_store_b128 v182, v[24:27] offset:8400
	ds_store_b128 v182, v[28:31] offset:10080
	ds_store_b128 v182, v[32:35] offset:11760
	v_fma_f64 v[36:37], v[36:37], v[139:140], v[90:91]
	v_fma_f64 v[38:39], v[38:39], v[139:140], -v[92:93]
	v_fma_f64 v[40:41], v[40:41], v[135:136], v[94:95]
	v_fma_f64 v[42:43], v[42:43], v[135:136], -v[96:97]
	v_fma_f64 v[46:47], v[46:47], v[119:120], v[98:99]
	v_fma_f64 v[48:49], v[48:49], v[119:120], -v[100:101]
	v_fma_f64 v[50:51], v[50:51], v[115:116], v[102:103]
	v_fma_f64 v[52:53], v[52:53], v[115:116], -v[104:105]
	v_fma_f64 v[54:55], v[54:55], v[111:112], v[106:107]
	v_fma_f64 v[56:57], v[56:57], v[111:112], -v[108:109]
	ds_store_b128 v182, v[36:39] offset:13440
	ds_store_b128 v182, v[40:43] offset:15120
	;; [unrolled: 1-line block ×5, first 2 shown]
	s_and_saveexec_b32 s3, vcc_lo
	s_cbranch_execz .LBB0_3
; %bb.2:
	scratch_load_b64 v[44:45], off, off offset:4 ; 8-byte Folded Reload
	v_mad_u64_u32 v[20:21], null, 0xffffb6f0, s8, v[0:1]
	s_mul_i32 s2, s9, 0xffffb6f0
	s_waitcnt vmcnt(0)
	s_clause 0x1
	global_load_b128 v[0:3], v[44:45], off offset:1456
	global_load_b128 v[4:7], v[44:45], off offset:3136
	scratch_load_b64 v[16:17], off, off offset:40 ; 8-byte Folded Reload
	s_sub_i32 s2, s2, s8
	s_delay_alu instid0(SALU_CYCLE_1) | instskip(SKIP_1) | instid1(VALU_DEP_1)
	v_add_nc_u32_e32 v21, s2, v21
	v_add_co_u32 v24, s2, v20, s12
	v_add_co_ci_u32_e64 v25, s2, s13, v21, s2
	s_delay_alu instid0(VALU_DEP_2) | instskip(NEXT) | instid1(VALU_DEP_1)
	v_add_co_u32 v28, s2, v24, s12
	v_add_co_ci_u32_e64 v29, s2, s13, v25, s2
	s_delay_alu instid0(VALU_DEP_2) | instskip(NEXT) | instid1(VALU_DEP_1)
	;; [unrolled: 3-line block ×10, first 2 shown]
	v_add_co_u32 v90, s2, v86, s12
	v_add_co_ci_u32_e64 v91, s2, s13, v87, s2
	v_add_co_u32 v98, s2, 0x5000, v44
	s_delay_alu instid0(VALU_DEP_1) | instskip(NEXT) | instid1(VALU_DEP_4)
	v_add_co_ci_u32_e64 v99, s2, 0, v45, s2
	v_add_co_u32 v102, s2, v90, s12
	s_delay_alu instid0(VALU_DEP_1)
	v_add_co_ci_u32_e64 v103, s2, s13, v91, s2
	s_waitcnt vmcnt(0)
	s_clause 0x2
	global_load_b128 v[8:11], v[16:17], off offset:720
	global_load_b128 v[12:15], v[16:17], off offset:2400
	;; [unrolled: 1-line block ×3, first 2 shown]
	global_load_b128 v[20:23], v[20:21], off
	global_load_b128 v[24:27], v[24:25], off
	;; [unrolled: 1-line block ×7, first 2 shown]
	scratch_load_b64 v[54:55], off, off offset:24 ; 8-byte Folded Reload
	s_waitcnt vmcnt(0)
	s_clause 0x1
	global_load_b128 v[50:53], v[54:55], off offset:1664
	global_load_b128 v[54:57], v[54:55], off offset:3344
	scratch_load_b64 v[70:71], off, off offset:32 ; 8-byte Folded Reload
	global_load_b128 v[58:61], v[58:59], off
	global_load_b128 v[62:65], v[62:63], off
	v_mul_f64 v[106:107], v[22:23], v[2:3]
	v_mul_f64 v[2:3], v[20:21], v[2:3]
	;; [unrolled: 1-line block ×10, first 2 shown]
	s_waitcnt vmcnt(2)
	s_clause 0x1
	global_load_b128 v[66:69], v[70:71], off offset:928
	global_load_b128 v[70:73], v[70:71], off offset:2608
	global_load_b128 v[74:77], v[74:75], off
	scratch_load_b64 v[94:95], off, off offset:16 ; 8-byte Folded Reload
	v_mul_f64 v[118:119], v[42:43], v[52:53]
	v_mul_f64 v[52:53], v[40:41], v[52:53]
	;; [unrolled: 1-line block ×4, first 2 shown]
	v_fma_f64 v[18:19], v[20:21], v[0:1], v[106:107]
	v_fma_f64 v[20:21], v[22:23], v[0:1], -v[2:3]
	v_fma_f64 v[0:1], v[24:25], v[4:5], v[108:109]
	v_fma_f64 v[2:3], v[26:27], v[4:5], -v[6:7]
	v_fma_f64 v[4:5], v[28:29], v[8:9], v[110:111]
	v_fma_f64 v[6:7], v[30:31], v[8:9], -v[10:11]
	v_fma_f64 v[8:9], v[32:33], v[12:13], v[112:113]
	v_fma_f64 v[10:11], v[34:35], v[12:13], -v[14:15]
	v_fma_f64 v[12:13], v[36:37], v[16:17], v[114:115]
	v_fma_f64 v[14:15], v[38:39], v[16:17], -v[116:117]
	s_waitcnt vmcnt(0)
	global_load_b128 v[78:81], v[94:95], off offset:192
	global_load_b128 v[82:85], v[86:87], off
	global_load_b128 v[86:89], v[94:95], off offset:1872
	global_load_b128 v[90:93], v[90:91], off
	s_clause 0x1
	global_load_b128 v[94:97], v[94:95], off offset:3552
	global_load_b128 v[98:101], v[98:99], off offset:1136
	global_load_b128 v[102:105], v[102:103], off
	v_mul_f64 v[122:123], v[60:61], v[68:69]
	v_mul_f64 v[68:69], v[58:59], v[68:69]
	;; [unrolled: 1-line block ×4, first 2 shown]
	v_fma_f64 v[22:23], v[40:41], v[50:51], v[118:119]
	v_fma_f64 v[24:25], v[42:43], v[50:51], -v[52:53]
	v_fma_f64 v[26:27], v[46:47], v[54:55], v[120:121]
	v_fma_f64 v[28:29], v[48:49], v[54:55], -v[56:57]
	;; [unrolled: 2-line block ×4, first 2 shown]
	s_waitcnt vmcnt(2)
	v_mul_f64 v[130:131], v[92:93], v[96:97]
	v_mul_f64 v[126:127], v[76:77], v[80:81]
	;; [unrolled: 1-line block ×6, first 2 shown]
	s_waitcnt vmcnt(0)
	v_mul_f64 v[132:133], v[104:105], v[100:101]
	v_mul_f64 v[100:101], v[102:103], v[100:101]
	v_fma_f64 v[50:51], v[90:91], v[94:95], v[130:131]
	v_fma_f64 v[38:39], v[74:75], v[78:79], v[126:127]
	v_fma_f64 v[40:41], v[76:77], v[78:79], -v[80:81]
	v_fma_f64 v[46:47], v[82:83], v[86:87], v[128:129]
	v_fma_f64 v[48:49], v[84:85], v[86:87], -v[88:89]
	v_fma_f64 v[52:53], v[92:93], v[94:95], -v[96:97]
	v_fma_f64 v[54:55], v[102:103], v[98:99], v[132:133]
	v_fma_f64 v[56:57], v[104:105], v[98:99], -v[100:101]
	ds_store_b128 v182, v[18:21] offset:1456
	ds_store_b128 v182, v[0:3] offset:3136
	;; [unrolled: 1-line block ×13, first 2 shown]
.LBB0_3:
	s_or_b32 exec_lo, exec_lo, s3
	scratch_store_b32 off, v134, off        ; 4-byte Folded Spill
	s_waitcnt lgkmcnt(0)
	s_waitcnt_vscnt null, 0x0
	s_barrier
	buffer_gl0_inv
	ds_load_b128 v[0:3], v182
	ds_load_b128 v[8:11], v182 offset:1680
	ds_load_b128 v[16:19], v182 offset:3360
	;; [unrolled: 1-line block ×12, first 2 shown]
                                        ; implicit-def: $vgpr52_vgpr53
                                        ; implicit-def: $vgpr56_vgpr57
                                        ; implicit-def: $vgpr60_vgpr61
                                        ; implicit-def: $vgpr64_vgpr65
                                        ; implicit-def: $vgpr68_vgpr69
                                        ; implicit-def: $vgpr72_vgpr73
                                        ; implicit-def: $vgpr76_vgpr77
                                        ; implicit-def: $vgpr80_vgpr81
                                        ; implicit-def: $vgpr84_vgpr85
                                        ; implicit-def: $vgpr88_vgpr89
                                        ; implicit-def: $vgpr92_vgpr93
                                        ; implicit-def: $vgpr96_vgpr97
                                        ; implicit-def: $vgpr120_vgpr121
	s_and_saveexec_b32 s2, vcc_lo
	s_cbranch_execz .LBB0_5
; %bb.4:
	ds_load_b128 v[52:55], v182 offset:1456
	ds_load_b128 v[56:59], v182 offset:3136
	;; [unrolled: 1-line block ×13, first 2 shown]
.LBB0_5:
	s_or_b32 exec_lo, exec_lo, s2
	s_waitcnt lgkmcnt(11)
	v_add_f64 v[46:47], v[0:1], v[8:9]
	v_add_f64 v[48:49], v[2:3], v[10:11]
	s_waitcnt lgkmcnt(5)
	v_add_f64 v[108:109], v[106:107], v[102:103]
	s_waitcnt lgkmcnt(2)
	v_add_f64 v[110:111], v[24:25], v[20:21]
	v_add_f64 v[112:113], v[26:27], v[22:23]
	s_waitcnt lgkmcnt(1)
	v_add_f64 v[114:115], v[16:17], v[12:13]
	v_add_f64 v[116:117], v[18:19], v[14:15]
	v_add_f64 v[118:119], v[16:17], -v[12:13]
	v_add_f64 v[124:125], v[18:19], -v[14:15]
	s_mov_b32 s38, 0x4267c47c
	s_mov_b32 s26, 0x42a4c3d2
	;; [unrolled: 1-line block ×29, first 2 shown]
	v_add_f64 v[46:47], v[46:47], v[16:17]
	v_add_f64 v[48:49], v[48:49], v[18:19]
	s_waitcnt lgkmcnt(0)
	v_add_f64 v[16:17], v[10:11], -v[6:7]
	v_add_f64 v[18:19], v[8:9], v[4:5]
	v_add_f64 v[10:11], v[10:11], v[6:7]
	v_add_f64 v[8:9], v[8:9], -v[4:5]
	s_mov_b32 s34, s38
	s_mov_b32 s41, 0x3fedeba7
	;; [unrolled: 1-line block ×7, first 2 shown]
	v_add_f64 v[172:173], v[76:77], v[80:81]
	v_add_f64 v[178:179], v[78:79], v[82:83]
	;; [unrolled: 1-line block ×4, first 2 shown]
	v_add_f64 v[24:25], v[24:25], -v[20:21]
	v_add_f64 v[26:27], v[26:27], -v[22:23]
	v_mul_f64 v[130:131], v[8:9], s[26:27]
	v_mul_f64 v[134:135], v[8:9], s[28:29]
	;; [unrolled: 1-line block ×4, first 2 shown]
	v_add_f64 v[46:47], v[46:47], v[32:33]
	v_add_f64 v[48:49], v[48:49], v[34:35]
	v_fma_f64 v[142:143], v[10:11], s[12:13], v[130:131]
	v_fma_f64 v[130:131], v[10:11], s[12:13], -v[130:131]
	v_fma_f64 v[144:145], v[10:11], s[2:3], v[134:135]
	v_fma_f64 v[134:135], v[10:11], s[2:3], -v[134:135]
	;; [unrolled: 2-line block ×4, first 2 shown]
	v_add_f64 v[46:47], v[46:47], v[40:41]
	v_add_f64 v[48:49], v[48:49], v[42:43]
	;; [unrolled: 1-line block ×11, first 2 shown]
	v_add_f64 v[104:105], v[104:105], -v[100:101]
	v_add_f64 v[106:107], v[106:107], -v[102:103]
	v_add_f64 v[50:51], v[50:51], v[100:101]
	v_add_f64 v[48:49], v[48:49], v[102:103]
	;; [unrolled: 1-line block ×4, first 2 shown]
	v_add_f64 v[40:41], v[40:41], -v[36:37]
	v_add_f64 v[42:43], v[42:43], -v[38:39]
	v_mul_f64 v[152:153], v[106:107], s[24:25]
	v_add_f64 v[50:51], v[50:51], v[36:37]
	v_add_f64 v[48:49], v[48:49], v[38:39]
	v_add_f64 v[36:37], v[32:33], v[28:29]
	v_add_f64 v[38:39], v[34:35], v[30:31]
	v_add_f64 v[32:33], v[32:33], -v[28:29]
	v_add_f64 v[34:35], v[34:35], -v[30:31]
	v_add_f64 v[28:29], v[50:51], v[28:29]
	v_add_f64 v[30:31], v[48:49], v[30:31]
	s_delay_alu instid0(VALU_DEP_2) | instskip(NEXT) | instid1(VALU_DEP_2)
	v_add_f64 v[20:21], v[28:29], v[20:21]
	v_add_f64 v[22:23], v[30:31], v[22:23]
	v_mul_f64 v[28:29], v[16:17], s[22:23]
	s_delay_alu instid0(VALU_DEP_3) | instskip(NEXT) | instid1(VALU_DEP_3)
	v_add_f64 v[12:13], v[20:21], v[12:13]
	v_add_f64 v[14:15], v[22:23], v[14:15]
	v_mul_f64 v[20:21], v[16:17], s[28:29]
	v_mul_f64 v[22:23], v[16:17], s[18:19]
	v_fma_f64 v[128:129], v[18:19], s[14:15], -v[28:29]
	v_fma_f64 v[28:29], v[18:19], s[14:15], v[28:29]
	v_add_f64 v[4:5], v[12:13], v[4:5]
	v_add_f64 v[6:7], v[14:15], v[6:7]
	v_mul_f64 v[12:13], v[16:17], s[38:39]
	v_mul_f64 v[14:15], v[16:17], s[26:27]
	v_mul_f64 v[16:17], v[16:17], s[24:25]
	v_fma_f64 v[50:51], v[18:19], s[2:3], -v[20:21]
	v_fma_f64 v[20:21], v[18:19], s[2:3], v[20:21]
	v_fma_f64 v[126:127], v[18:19], s[8:9], -v[22:23]
	v_fma_f64 v[22:23], v[18:19], s[8:9], v[22:23]
	v_add_f64 v[148:149], v[0:1], v[128:129]
	v_add_f64 v[144:145], v[0:1], v[28:29]
	v_mul_f64 v[28:29], v[34:35], s[18:19]
	v_fma_f64 v[30:31], v[18:19], s[16:17], -v[12:13]
	v_fma_f64 v[12:13], v[18:19], s[16:17], v[12:13]
	v_fma_f64 v[48:49], v[18:19], s[12:13], -v[14:15]
	v_fma_f64 v[14:15], v[18:19], s[12:13], v[14:15]
	;; [unrolled: 2-line block ×3, first 2 shown]
	v_mul_f64 v[18:19], v[8:9], s[38:39]
	v_mul_f64 v[8:9], v[8:9], s[24:25]
	v_add_f64 v[162:163], v[0:1], v[50:51]
	v_add_f64 v[50:51], v[0:1], v[126:127]
	;; [unrolled: 1-line block ×4, first 2 shown]
	v_mul_f64 v[20:21], v[26:27], s[28:29]
	v_mul_f64 v[22:23], v[24:25], s[28:29]
	v_add_f64 v[156:157], v[0:1], v[48:49]
	v_add_f64 v[48:49], v[2:3], v[146:147]
	;; [unrolled: 1-line block ×4, first 2 shown]
	v_fma_f64 v[140:141], v[10:11], s[16:17], v[18:19]
	v_fma_f64 v[18:19], v[10:11], s[16:17], -v[18:19]
	v_fma_f64 v[154:155], v[10:11], s[20:21], v[8:9]
	v_fma_f64 v[8:9], v[10:11], s[20:21], -v[8:9]
	v_add_f64 v[10:11], v[0:1], v[30:31]
	v_add_f64 v[128:129], v[0:1], v[132:133]
	v_fma_f64 v[14:15], v[110:111], s[2:3], -v[20:21]
	v_mul_f64 v[132:133], v[42:43], s[22:23]
	v_mul_f64 v[150:151], v[40:41], s[22:23]
	v_add_f64 v[30:31], v[2:3], v[140:141]
	v_add_f64 v[18:19], v[2:3], v[18:19]
	;; [unrolled: 1-line block ×4, first 2 shown]
	v_mul_f64 v[8:9], v[124:125], s[26:27]
	v_add_f64 v[140:141], v[0:1], v[12:13]
	v_add_f64 v[0:1], v[0:1], v[16:17]
	v_mul_f64 v[16:17], v[118:119], s[26:27]
	s_delay_alu instid0(VALU_DEP_4) | instskip(SKIP_1) | instid1(VALU_DEP_2)
	v_fma_f64 v[12:13], v[114:115], s[12:13], -v[8:9]
	v_fma_f64 v[8:9], v[114:115], s[12:13], v[8:9]
	v_add_f64 v[10:11], v[12:13], v[10:11]
	s_delay_alu instid0(VALU_DEP_4) | instskip(SKIP_1) | instid1(VALU_DEP_4)
	v_fma_f64 v[12:13], v[116:117], s[12:13], v[16:17]
	v_fma_f64 v[16:17], v[116:117], s[12:13], -v[16:17]
	v_add_f64 v[8:9], v[8:9], v[140:141]
	v_mul_f64 v[140:141], v[34:35], s[36:37]
	v_add_f64 v[10:11], v[14:15], v[10:11]
	v_add_f64 v[12:13], v[12:13], v[30:31]
	v_fma_f64 v[14:15], v[112:113], s[2:3], v[22:23]
	v_mul_f64 v[30:31], v[32:33], s[18:19]
	v_add_f64 v[16:17], v[16:17], v[18:19]
	v_fma_f64 v[18:19], v[110:111], s[2:3], v[20:21]
	s_delay_alu instid0(VALU_DEP_4) | instskip(SKIP_1) | instid1(VALU_DEP_3)
	v_add_f64 v[12:13], v[14:15], v[12:13]
	v_fma_f64 v[14:15], v[36:37], s[8:9], -v[28:29]
	v_add_f64 v[8:9], v[18:19], v[8:9]
	v_fma_f64 v[18:19], v[112:113], s[2:3], -v[22:23]
	s_delay_alu instid0(VALU_DEP_3) | instskip(SKIP_1) | instid1(VALU_DEP_3)
	v_add_f64 v[10:11], v[14:15], v[10:11]
	v_fma_f64 v[14:15], v[38:39], s[8:9], v[30:31]
	v_add_f64 v[16:17], v[18:19], v[16:17]
	v_fma_f64 v[18:19], v[36:37], s[8:9], v[28:29]
	v_mul_f64 v[28:29], v[118:119], s[18:19]
	s_delay_alu instid0(VALU_DEP_4) | instskip(SKIP_1) | instid1(VALU_DEP_4)
	v_add_f64 v[12:13], v[14:15], v[12:13]
	v_fma_f64 v[14:15], v[100:101], s[14:15], -v[132:133]
	v_add_f64 v[8:9], v[18:19], v[8:9]
	v_fma_f64 v[18:19], v[38:39], s[8:9], -v[30:31]
	v_mul_f64 v[30:31], v[26:27], s[24:25]
	v_fma_f64 v[20:21], v[116:117], s[8:9], v[28:29]
	v_fma_f64 v[28:29], v[116:117], s[8:9], -v[28:29]
	v_add_f64 v[10:11], v[14:15], v[10:11]
	v_fma_f64 v[14:15], v[102:103], s[14:15], v[150:151]
	v_add_f64 v[16:17], v[18:19], v[16:17]
	v_fma_f64 v[18:19], v[100:101], s[14:15], v[132:133]
	v_fma_f64 v[22:23], v[110:111], s[20:21], -v[30:31]
	v_mul_f64 v[132:133], v[24:25], s[24:25]
	v_add_f64 v[20:21], v[20:21], v[142:143]
	v_mul_f64 v[142:143], v[32:33], s[36:37]
	v_fma_f64 v[30:31], v[110:111], s[20:21], v[30:31]
	v_add_f64 v[28:29], v[28:29], v[160:161]
	v_add_f64 v[14:15], v[14:15], v[12:13]
	v_fma_f64 v[12:13], v[46:47], s[20:21], -v[152:153]
	v_add_f64 v[8:9], v[18:19], v[8:9]
	v_fma_f64 v[18:19], v[102:103], s[14:15], -v[150:151]
	v_mul_f64 v[150:151], v[42:43], s[30:31]
	s_delay_alu instid0(VALU_DEP_4) | instskip(SKIP_1) | instid1(VALU_DEP_4)
	v_add_f64 v[12:13], v[12:13], v[10:11]
	v_mul_f64 v[10:11], v[104:105], s[24:25]
	v_add_f64 v[16:17], v[18:19], v[16:17]
	v_fma_f64 v[18:19], v[46:47], s[20:21], v[152:153]
	v_mul_f64 v[152:153], v[40:41], s[30:31]
	s_delay_alu instid0(VALU_DEP_4) | instskip(SKIP_1) | instid1(VALU_DEP_4)
	v_fma_f64 v[154:155], v[108:109], s[20:21], v[10:11]
	v_fma_f64 v[10:11], v[108:109], s[20:21], -v[10:11]
	v_add_f64 v[8:9], v[18:19], v[8:9]
	s_delay_alu instid0(VALU_DEP_3) | instskip(NEXT) | instid1(VALU_DEP_3)
	v_add_f64 v[14:15], v[154:155], v[14:15]
	v_add_f64 v[10:11], v[10:11], v[16:17]
	v_mul_f64 v[16:17], v[124:125], s[18:19]
	v_mul_f64 v[154:155], v[106:107], s[34:35]
	s_delay_alu instid0(VALU_DEP_2) | instskip(SKIP_1) | instid1(VALU_DEP_2)
	v_fma_f64 v[18:19], v[114:115], s[8:9], -v[16:17]
	v_fma_f64 v[16:17], v[114:115], s[8:9], v[16:17]
	v_add_f64 v[18:19], v[18:19], v[156:157]
	s_delay_alu instid0(VALU_DEP_2) | instskip(NEXT) | instid1(VALU_DEP_2)
	v_add_f64 v[16:17], v[16:17], v[158:159]
	v_add_f64 v[18:19], v[22:23], v[18:19]
	v_fma_f64 v[22:23], v[112:113], s[20:21], v[132:133]
	s_delay_alu instid0(VALU_DEP_3) | instskip(SKIP_2) | instid1(VALU_DEP_4)
	v_add_f64 v[16:17], v[30:31], v[16:17]
	v_fma_f64 v[30:31], v[112:113], s[20:21], -v[132:133]
	v_mul_f64 v[132:133], v[124:125], s[24:25]
	v_add_f64 v[20:21], v[22:23], v[20:21]
	v_fma_f64 v[22:23], v[36:37], s[14:15], -v[140:141]
	s_delay_alu instid0(VALU_DEP_4) | instskip(SKIP_2) | instid1(VALU_DEP_4)
	v_add_f64 v[28:29], v[30:31], v[28:29]
	v_fma_f64 v[30:31], v[36:37], s[14:15], v[140:141]
	v_mul_f64 v[140:141], v[118:119], s[24:25]
	v_add_f64 v[18:19], v[22:23], v[18:19]
	v_fma_f64 v[22:23], v[38:39], s[14:15], v[142:143]
	s_delay_alu instid0(VALU_DEP_4) | instskip(SKIP_2) | instid1(VALU_DEP_4)
	v_add_f64 v[16:17], v[30:31], v[16:17]
	v_fma_f64 v[30:31], v[38:39], s[14:15], -v[142:143]
	v_mul_f64 v[142:143], v[26:27], s[40:41]
	v_add_f64 v[20:21], v[22:23], v[20:21]
	v_fma_f64 v[22:23], v[100:101], s[2:3], -v[150:151]
	s_delay_alu instid0(VALU_DEP_4) | instskip(SKIP_2) | instid1(VALU_DEP_4)
	v_add_f64 v[28:29], v[30:31], v[28:29]
	v_fma_f64 v[30:31], v[100:101], s[2:3], v[150:151]
	v_fma_f64 v[150:151], v[110:111], s[8:9], -v[142:143]
	v_add_f64 v[18:19], v[22:23], v[18:19]
	v_fma_f64 v[22:23], v[102:103], s[2:3], v[152:153]
	s_delay_alu instid0(VALU_DEP_4) | instskip(SKIP_1) | instid1(VALU_DEP_3)
	v_add_f64 v[16:17], v[30:31], v[16:17]
	v_fma_f64 v[30:31], v[102:103], s[2:3], -v[152:153]
	v_add_f64 v[22:23], v[22:23], v[20:21]
	v_fma_f64 v[20:21], v[46:47], s[16:17], -v[154:155]
	s_delay_alu instid0(VALU_DEP_3) | instskip(SKIP_1) | instid1(VALU_DEP_3)
	v_add_f64 v[28:29], v[30:31], v[28:29]
	v_fma_f64 v[30:31], v[46:47], s[16:17], v[154:155]
	v_add_f64 v[20:21], v[20:21], v[18:19]
	v_mul_f64 v[18:19], v[104:105], s[34:35]
	s_delay_alu instid0(VALU_DEP_3) | instskip(SKIP_2) | instid1(VALU_DEP_4)
	v_add_f64 v[16:17], v[30:31], v[16:17]
	v_fma_f64 v[30:31], v[116:117], s[20:21], v[140:141]
	v_fma_f64 v[140:141], v[116:117], s[20:21], -v[140:141]
	v_fma_f64 v[156:157], v[108:109], s[16:17], v[18:19]
	v_fma_f64 v[18:19], v[108:109], s[16:17], -v[18:19]
	s_delay_alu instid0(VALU_DEP_4) | instskip(NEXT) | instid1(VALU_DEP_4)
	v_add_f64 v[30:31], v[30:31], v[164:165]
	v_add_f64 v[134:135], v[140:141], v[134:135]
	v_fma_f64 v[140:141], v[110:111], s[8:9], v[142:143]
	v_add_f64 v[22:23], v[156:157], v[22:23]
	v_add_f64 v[18:19], v[18:19], v[28:29]
	v_fma_f64 v[28:29], v[114:115], s[20:21], -v[132:133]
	v_fma_f64 v[132:133], v[114:115], s[20:21], v[132:133]
	s_delay_alu instid0(VALU_DEP_2) | instskip(NEXT) | instid1(VALU_DEP_2)
	v_add_f64 v[28:29], v[28:29], v[162:163]
	v_add_f64 v[132:133], v[132:133], v[166:167]
	v_mul_f64 v[166:167], v[106:107], s[42:43]
	s_delay_alu instid0(VALU_DEP_3) | instskip(SKIP_1) | instid1(VALU_DEP_4)
	v_add_f64 v[28:29], v[150:151], v[28:29]
	v_mul_f64 v[150:151], v[24:25], s[40:41]
	v_add_f64 v[132:133], v[140:141], v[132:133]
	s_delay_alu instid0(VALU_DEP_2) | instskip(SKIP_2) | instid1(VALU_DEP_3)
	v_fma_f64 v[152:153], v[112:113], s[8:9], v[150:151]
	v_fma_f64 v[140:141], v[112:113], s[8:9], -v[150:151]
	v_mul_f64 v[150:151], v[124:125], s[36:37]
	v_add_f64 v[30:31], v[152:153], v[30:31]
	v_mul_f64 v[152:153], v[34:35], s[34:35]
	s_delay_alu instid0(VALU_DEP_4) | instskip(NEXT) | instid1(VALU_DEP_2)
	v_add_f64 v[134:135], v[140:141], v[134:135]
	v_fma_f64 v[154:155], v[36:37], s[16:17], -v[152:153]
	v_fma_f64 v[140:141], v[36:37], s[16:17], v[152:153]
	v_mul_f64 v[152:153], v[118:119], s[36:37]
	s_delay_alu instid0(VALU_DEP_3) | instskip(SKIP_1) | instid1(VALU_DEP_4)
	v_add_f64 v[28:29], v[154:155], v[28:29]
	v_mul_f64 v[154:155], v[32:33], s[34:35]
	v_add_f64 v[132:133], v[140:141], v[132:133]
	s_delay_alu instid0(VALU_DEP_2) | instskip(SKIP_2) | instid1(VALU_DEP_3)
	v_fma_f64 v[156:157], v[38:39], s[16:17], v[154:155]
	v_fma_f64 v[140:141], v[38:39], s[16:17], -v[154:155]
	v_mul_f64 v[154:155], v[26:27], s[34:35]
	v_add_f64 v[30:31], v[156:157], v[30:31]
	v_mul_f64 v[156:157], v[42:43], s[26:27]
	s_delay_alu instid0(VALU_DEP_4) | instskip(NEXT) | instid1(VALU_DEP_2)
	v_add_f64 v[134:135], v[140:141], v[134:135]
	v_fma_f64 v[158:159], v[100:101], s[12:13], -v[156:157]
	v_fma_f64 v[140:141], v[100:101], s[12:13], v[156:157]
	v_mul_f64 v[156:157], v[24:25], s[34:35]
	s_delay_alu instid0(VALU_DEP_3) | instskip(SKIP_1) | instid1(VALU_DEP_4)
	v_add_f64 v[28:29], v[158:159], v[28:29]
	v_mul_f64 v[158:159], v[40:41], s[26:27]
	v_add_f64 v[132:133], v[140:141], v[132:133]
	s_delay_alu instid0(VALU_DEP_2) | instskip(SKIP_2) | instid1(VALU_DEP_3)
	v_fma_f64 v[160:161], v[102:103], s[12:13], v[158:159]
	v_fma_f64 v[140:141], v[102:103], s[12:13], -v[158:159]
	v_mul_f64 v[158:159], v[34:35], s[28:29]
	v_add_f64 v[30:31], v[160:161], v[30:31]
	v_mul_f64 v[160:161], v[106:107], s[22:23]
	s_delay_alu instid0(VALU_DEP_4) | instskip(NEXT) | instid1(VALU_DEP_2)
	v_add_f64 v[134:135], v[140:141], v[134:135]
	v_fma_f64 v[140:141], v[46:47], s[14:15], v[160:161]
	v_fma_f64 v[162:163], v[46:47], s[14:15], -v[160:161]
	v_mul_f64 v[160:161], v[32:33], s[28:29]
	s_delay_alu instid0(VALU_DEP_3) | instskip(SKIP_1) | instid1(VALU_DEP_4)
	v_add_f64 v[132:133], v[140:141], v[132:133]
	v_fma_f64 v[140:141], v[114:115], s[14:15], -v[150:151]
	v_add_f64 v[28:29], v[162:163], v[28:29]
	v_mul_f64 v[162:163], v[104:105], s[22:23]
	s_delay_alu instid0(VALU_DEP_3) | instskip(SKIP_1) | instid1(VALU_DEP_3)
	v_add_f64 v[50:51], v[140:141], v[50:51]
	v_fma_f64 v[140:141], v[116:117], s[14:15], v[152:153]
	v_fma_f64 v[164:165], v[108:109], s[14:15], v[162:163]
	v_fma_f64 v[142:143], v[108:109], s[14:15], -v[162:163]
	v_mul_f64 v[162:163], v[42:43], s[44:45]
	s_delay_alu instid0(VALU_DEP_4) | instskip(SKIP_4) | instid1(VALU_DEP_4)
	v_add_f64 v[48:49], v[140:141], v[48:49]
	v_fma_f64 v[140:141], v[110:111], s[16:17], -v[154:155]
	v_add_f64 v[30:31], v[164:165], v[30:31]
	v_mul_f64 v[164:165], v[40:41], s[44:45]
	v_add_f64 v[134:135], v[142:143], v[134:135]
	v_add_f64 v[50:51], v[140:141], v[50:51]
	v_fma_f64 v[140:141], v[112:113], s[16:17], v[156:157]
	s_delay_alu instid0(VALU_DEP_1) | instskip(SKIP_1) | instid1(VALU_DEP_1)
	v_add_f64 v[48:49], v[140:141], v[48:49]
	v_fma_f64 v[140:141], v[36:37], s[2:3], -v[158:159]
	v_add_f64 v[50:51], v[140:141], v[50:51]
	v_fma_f64 v[140:141], v[38:39], s[2:3], v[160:161]
	s_delay_alu instid0(VALU_DEP_1) | instskip(SKIP_1) | instid1(VALU_DEP_1)
	v_add_f64 v[48:49], v[140:141], v[48:49]
	v_fma_f64 v[140:141], v[100:101], s[20:21], -v[162:163]
	;; [unrolled: 5-line block ×3, first 2 shown]
	v_add_f64 v[140:141], v[140:141], v[50:51]
	v_mul_f64 v[50:51], v[104:105], s[42:43]
	s_delay_alu instid0(VALU_DEP_1) | instskip(SKIP_1) | instid1(VALU_DEP_2)
	v_fma_f64 v[142:143], v[108:109], s[12:13], v[50:51]
	v_fma_f64 v[50:51], v[108:109], s[12:13], -v[50:51]
	v_add_f64 v[142:143], v[142:143], v[48:49]
	v_fma_f64 v[48:49], v[114:115], s[14:15], v[150:151]
	v_mul_f64 v[150:151], v[124:125], s[30:31]
	v_mul_f64 v[124:125], v[124:125], s[34:35]
	s_delay_alu instid0(VALU_DEP_3) | instskip(SKIP_1) | instid1(VALU_DEP_1)
	v_add_f64 v[48:49], v[48:49], v[138:139]
	v_fma_f64 v[138:139], v[116:117], s[14:15], -v[152:153]
	v_add_f64 v[136:137], v[138:139], v[136:137]
	v_fma_f64 v[138:139], v[110:111], s[16:17], v[154:155]
	s_delay_alu instid0(VALU_DEP_1) | instskip(SKIP_1) | instid1(VALU_DEP_1)
	v_add_f64 v[48:49], v[138:139], v[48:49]
	v_fma_f64 v[138:139], v[112:113], s[16:17], -v[156:157]
	v_add_f64 v[136:137], v[138:139], v[136:137]
	v_fma_f64 v[138:139], v[36:37], s[2:3], v[158:159]
	s_delay_alu instid0(VALU_DEP_1) | instskip(SKIP_1) | instid1(VALU_DEP_1)
	;; [unrolled: 5-line block ×3, first 2 shown]
	v_add_f64 v[48:49], v[138:139], v[48:49]
	v_fma_f64 v[138:139], v[102:103], s[20:21], -v[164:165]
	v_add_f64 v[138:139], v[138:139], v[136:137]
	v_fma_f64 v[136:137], v[46:47], s[12:13], v[166:167]
	s_delay_alu instid0(VALU_DEP_2) | instskip(NEXT) | instid1(VALU_DEP_2)
	v_add_f64 v[138:139], v[50:51], v[138:139]
	v_add_f64 v[136:137], v[136:137], v[48:49]
	v_fma_f64 v[48:49], v[114:115], s[2:3], -v[150:151]
	v_fma_f64 v[150:151], v[114:115], s[2:3], v[150:151]
	s_delay_alu instid0(VALU_DEP_2) | instskip(SKIP_1) | instid1(VALU_DEP_3)
	v_add_f64 v[48:49], v[48:49], v[148:149]
	v_mul_f64 v[148:149], v[118:119], s[30:31]
	v_add_f64 v[144:145], v[150:151], v[144:145]
	v_mul_f64 v[118:119], v[118:119], s[34:35]
	v_add_f64 v[150:151], v[70:71], -v[90:91]
	s_delay_alu instid0(VALU_DEP_4) | instskip(SKIP_1) | instid1(VALU_DEP_2)
	v_fma_f64 v[50:51], v[116:117], s[2:3], v[148:149]
	v_fma_f64 v[148:149], v[116:117], s[2:3], -v[148:149]
	v_add_f64 v[50:51], v[50:51], v[146:147]
	v_mul_f64 v[146:147], v[26:27], s[26:27]
	s_delay_alu instid0(VALU_DEP_3) | instskip(SKIP_1) | instid1(VALU_DEP_3)
	v_add_f64 v[130:131], v[148:149], v[130:131]
	v_mul_f64 v[26:27], v[26:27], s[22:23]
	v_fma_f64 v[152:153], v[110:111], s[12:13], -v[146:147]
	v_fma_f64 v[146:147], v[110:111], s[12:13], v[146:147]
	s_delay_alu instid0(VALU_DEP_2) | instskip(SKIP_1) | instid1(VALU_DEP_3)
	v_add_f64 v[48:49], v[152:153], v[48:49]
	v_mul_f64 v[152:153], v[24:25], s[26:27]
	v_add_f64 v[144:145], v[146:147], v[144:145]
	v_mul_f64 v[24:25], v[24:25], s[22:23]
	s_delay_alu instid0(VALU_DEP_3) | instskip(SKIP_2) | instid1(VALU_DEP_3)
	v_fma_f64 v[154:155], v[112:113], s[12:13], v[152:153]
	v_fma_f64 v[146:147], v[112:113], s[12:13], -v[152:153]
	v_add_f64 v[152:153], v[68:69], v[88:89]
	v_add_f64 v[50:51], v[154:155], v[50:51]
	v_mul_f64 v[154:155], v[34:35], s[44:45]
	s_delay_alu instid0(VALU_DEP_4) | instskip(SKIP_1) | instid1(VALU_DEP_3)
	v_add_f64 v[130:131], v[146:147], v[130:131]
	v_mul_f64 v[34:35], v[34:35], s[42:43]
	v_fma_f64 v[156:157], v[36:37], s[20:21], -v[154:155]
	v_fma_f64 v[146:147], v[36:37], s[20:21], v[154:155]
	v_add_f64 v[154:155], v[68:69], -v[88:89]
	s_delay_alu instid0(VALU_DEP_3) | instskip(SKIP_1) | instid1(VALU_DEP_4)
	v_add_f64 v[48:49], v[156:157], v[48:49]
	v_mul_f64 v[156:157], v[32:33], s[44:45]
	v_add_f64 v[144:145], v[146:147], v[144:145]
	v_mul_f64 v[32:33], v[32:33], s[42:43]
	s_delay_alu instid0(VALU_DEP_3) | instskip(SKIP_2) | instid1(VALU_DEP_3)
	v_fma_f64 v[158:159], v[38:39], s[20:21], v[156:157]
	v_fma_f64 v[146:147], v[38:39], s[20:21], -v[156:157]
	v_add_f64 v[156:157], v[70:71], v[90:91]
	v_add_f64 v[50:51], v[158:159], v[50:51]
	v_mul_f64 v[158:159], v[42:43], s[34:35]
	s_delay_alu instid0(VALU_DEP_4) | instskip(SKIP_1) | instid1(VALU_DEP_3)
	v_add_f64 v[130:131], v[146:147], v[130:131]
	v_mul_f64 v[42:43], v[42:43], s[18:19]
	v_fma_f64 v[160:161], v[100:101], s[16:17], -v[158:159]
	v_fma_f64 v[146:147], v[100:101], s[16:17], v[158:159]
	s_delay_alu instid0(VALU_DEP_2) | instskip(SKIP_1) | instid1(VALU_DEP_3)
	v_add_f64 v[48:49], v[160:161], v[48:49]
	v_mul_f64 v[160:161], v[40:41], s[34:35]
	v_add_f64 v[144:145], v[146:147], v[144:145]
	v_mul_f64 v[40:41], v[40:41], s[18:19]
	s_delay_alu instid0(VALU_DEP_3) | instskip(SKIP_2) | instid1(VALU_DEP_3)
	v_fma_f64 v[162:163], v[102:103], s[16:17], v[160:161]
	v_fma_f64 v[146:147], v[102:103], s[16:17], -v[160:161]
	v_add_f64 v[160:161], v[72:73], v[84:85]
	v_add_f64 v[50:51], v[162:163], v[50:51]
	v_mul_f64 v[162:163], v[106:107], s[18:19]
	s_delay_alu instid0(VALU_DEP_4) | instskip(NEXT) | instid1(VALU_DEP_2)
	v_add_f64 v[130:131], v[146:147], v[130:131]
	v_fma_f64 v[164:165], v[46:47], s[8:9], -v[162:163]
	v_fma_f64 v[146:147], v[46:47], s[8:9], v[162:163]
	s_delay_alu instid0(VALU_DEP_2) | instskip(SKIP_1) | instid1(VALU_DEP_3)
	v_add_f64 v[48:49], v[164:165], v[48:49]
	v_mul_f64 v[164:165], v[104:105], s[18:19]
	v_add_f64 v[144:145], v[146:147], v[144:145]
	s_delay_alu instid0(VALU_DEP_2) | instskip(SKIP_1) | instid1(VALU_DEP_2)
	v_fma_f64 v[148:149], v[108:109], s[8:9], -v[164:165]
	v_fma_f64 v[166:167], v[108:109], s[8:9], v[164:165]
	v_add_f64 v[146:147], v[148:149], v[130:131]
	v_fma_f64 v[130:131], v[114:115], s[16:17], -v[124:125]
	v_fma_f64 v[114:115], v[114:115], s[16:17], v[124:125]
	v_mul_f64 v[148:149], v[104:105], s[30:31]
	v_add_f64 v[124:125], v[66:67], -v[94:95]
	v_add_f64 v[50:51], v[166:167], v[50:51]
	v_add_f64 v[166:167], v[74:75], v[86:87]
	;; [unrolled: 1-line block ×3, first 2 shown]
	v_fma_f64 v[130:131], v[116:117], s[16:17], v[118:119]
	v_fma_f64 v[116:117], v[116:117], s[16:17], -v[118:119]
	v_add_f64 v[0:1], v[114:115], v[0:1]
	v_add_f64 v[114:115], v[56:57], -v[120:121]
	v_add_f64 v[118:119], v[60:61], -v[96:97]
	v_add_f64 v[126:127], v[130:131], v[126:127]
	v_fma_f64 v[130:131], v[110:111], s[14:15], -v[26:27]
	v_fma_f64 v[26:27], v[110:111], s[14:15], v[26:27]
	v_add_f64 v[2:3], v[116:117], v[2:3]
	v_add_f64 v[116:117], v[58:59], v[122:123]
	s_delay_alu instid0(VALU_DEP_4)
	v_add_f64 v[128:129], v[130:131], v[128:129]
	v_fma_f64 v[130:131], v[112:113], s[14:15], v[24:25]
	v_fma_f64 v[24:25], v[112:113], s[14:15], -v[24:25]
	v_add_f64 v[0:1], v[26:27], v[0:1]
	v_fma_f64 v[26:27], v[102:103], s[8:9], -v[40:41]
	v_add_f64 v[112:113], v[60:61], v[96:97]
	v_add_f64 v[126:127], v[130:131], v[126:127]
	v_fma_f64 v[130:131], v[36:37], s[12:13], -v[34:35]
	v_fma_f64 v[34:35], v[36:37], s[12:13], v[34:35]
	v_add_f64 v[2:3], v[24:25], v[2:3]
	v_fma_f64 v[24:25], v[100:101], s[8:9], v[42:43]
	s_delay_alu instid0(VALU_DEP_4) | instskip(SKIP_4) | instid1(VALU_DEP_4)
	v_add_f64 v[128:129], v[130:131], v[128:129]
	v_fma_f64 v[130:131], v[38:39], s[12:13], v[32:33]
	v_fma_f64 v[32:33], v[38:39], s[12:13], -v[32:33]
	v_add_f64 v[0:1], v[34:35], v[0:1]
	v_mul_f64 v[34:35], v[118:119], s[26:27]
	v_add_f64 v[126:127], v[130:131], v[126:127]
	v_fma_f64 v[130:131], v[100:101], s[8:9], -v[42:43]
	v_add_f64 v[2:3], v[32:33], v[2:3]
	v_add_f64 v[0:1], v[24:25], v[0:1]
	;; [unrolled: 1-line block ×3, first 2 shown]
	v_mul_f64 v[32:33], v[114:115], s[38:39]
	v_add_f64 v[128:129], v[130:131], v[128:129]
	v_fma_f64 v[130:131], v[102:103], s[8:9], v[40:41]
	v_add_f64 v[2:3], v[26:27], v[2:3]
	v_fma_f64 v[26:27], v[108:109], s[2:3], -v[148:149]
	v_add_f64 v[102:103], v[62:63], -v[98:99]
	s_delay_alu instid0(VALU_DEP_4)
	v_add_f64 v[126:127], v[130:131], v[126:127]
	v_mul_f64 v[130:131], v[106:107], s[30:31]
	v_fma_f64 v[106:107], v[108:109], s[2:3], v[148:149]
	v_add_f64 v[110:111], v[26:27], v[2:3]
	v_mul_f64 v[26:27], v[102:103], s[26:27]
	v_add_f64 v[148:149], v[66:67], v[94:95]
	v_fma_f64 v[104:105], v[46:47], s[2:3], -v[130:131]
	v_fma_f64 v[24:25], v[46:47], s[2:3], v[130:131]
	v_add_f64 v[46:47], v[58:59], -v[122:123]
	v_fma_f64 v[2:3], v[112:113], s[12:13], -v[26:27]
	v_add_f64 v[130:131], v[64:65], v[92:93]
	v_add_f64 v[106:107], v[106:107], v[126:127]
	v_add_f64 v[126:127], v[64:65], -v[92:93]
	v_fma_f64 v[26:27], v[112:113], s[12:13], v[26:27]
	v_add_f64 v[104:105], v[104:105], v[128:129]
	v_add_f64 v[108:109], v[24:25], v[0:1]
	v_mul_f64 v[24:25], v[46:47], s[38:39]
	v_add_f64 v[128:129], v[62:63], v[98:99]
	s_delay_alu instid0(VALU_DEP_2) | instskip(NEXT) | instid1(VALU_DEP_2)
	v_fma_f64 v[0:1], v[100:101], s[16:17], -v[24:25]
	v_fma_f64 v[36:37], v[128:129], s[12:13], v[34:35]
	v_fma_f64 v[24:25], v[100:101], s[16:17], v[24:25]
	s_delay_alu instid0(VALU_DEP_3) | instskip(NEXT) | instid1(VALU_DEP_2)
	v_add_f64 v[0:1], v[52:53], v[0:1]
	v_add_f64 v[24:25], v[52:53], v[24:25]
	s_delay_alu instid0(VALU_DEP_2) | instskip(SKIP_1) | instid1(VALU_DEP_3)
	v_add_f64 v[0:1], v[2:3], v[0:1]
	v_fma_f64 v[2:3], v[116:117], s[16:17], v[32:33]
	v_add_f64 v[24:25], v[26:27], v[24:25]
	v_fma_f64 v[26:27], v[116:117], s[16:17], -v[32:33]
	v_fma_f64 v[32:33], v[128:129], s[12:13], -v[34:35]
	s_delay_alu instid0(VALU_DEP_4) | instskip(NEXT) | instid1(VALU_DEP_3)
	v_add_f64 v[2:3], v[54:55], v[2:3]
	v_add_f64 v[26:27], v[54:55], v[26:27]
	s_delay_alu instid0(VALU_DEP_2) | instskip(SKIP_1) | instid1(VALU_DEP_3)
	v_add_f64 v[2:3], v[36:37], v[2:3]
	v_mul_f64 v[36:37], v[124:125], s[28:29]
	v_add_f64 v[26:27], v[32:33], v[26:27]
	s_delay_alu instid0(VALU_DEP_2) | instskip(SKIP_2) | instid1(VALU_DEP_3)
	v_fma_f64 v[38:39], v[130:131], s[2:3], -v[36:37]
	v_fma_f64 v[32:33], v[130:131], s[2:3], v[36:37]
	v_mul_f64 v[36:37], v[114:115], s[26:27]
	v_add_f64 v[0:1], v[38:39], v[0:1]
	v_mul_f64 v[38:39], v[126:127], s[28:29]
	s_delay_alu instid0(VALU_DEP_4) | instskip(NEXT) | instid1(VALU_DEP_2)
	v_add_f64 v[24:25], v[32:33], v[24:25]
	v_fma_f64 v[40:41], v[148:149], s[2:3], v[38:39]
	v_fma_f64 v[32:33], v[148:149], s[2:3], -v[38:39]
	v_mul_f64 v[38:39], v[118:119], s[18:19]
	s_delay_alu instid0(VALU_DEP_3) | instskip(SKIP_1) | instid1(VALU_DEP_4)
	v_add_f64 v[2:3], v[40:41], v[2:3]
	v_mul_f64 v[40:41], v[150:151], s[18:19]
	v_add_f64 v[26:27], v[32:33], v[26:27]
	s_delay_alu instid0(VALU_DEP_2) | instskip(SKIP_2) | instid1(VALU_DEP_3)
	v_fma_f64 v[42:43], v[152:153], s[8:9], -v[40:41]
	v_fma_f64 v[32:33], v[152:153], s[8:9], v[40:41]
	v_fma_f64 v[40:41], v[128:129], s[8:9], v[38:39]
	v_add_f64 v[0:1], v[42:43], v[0:1]
	v_mul_f64 v[42:43], v[154:155], s[18:19]
	s_delay_alu instid0(VALU_DEP_4) | instskip(NEXT) | instid1(VALU_DEP_2)
	v_add_f64 v[24:25], v[32:33], v[24:25]
	v_fma_f64 v[158:159], v[156:157], s[8:9], v[42:43]
	v_fma_f64 v[32:33], v[156:157], s[8:9], -v[42:43]
	s_delay_alu instid0(VALU_DEP_2) | instskip(SKIP_1) | instid1(VALU_DEP_3)
	v_add_f64 v[2:3], v[158:159], v[2:3]
	v_add_f64 v[158:159], v[74:75], -v[86:87]
	v_add_f64 v[26:27], v[32:33], v[26:27]
	s_delay_alu instid0(VALU_DEP_2) | instskip(NEXT) | instid1(VALU_DEP_1)
	v_mul_f64 v[162:163], v[158:159], s[22:23]
	v_fma_f64 v[164:165], v[160:161], s[14:15], -v[162:163]
	v_fma_f64 v[32:33], v[160:161], s[14:15], v[162:163]
	s_delay_alu instid0(VALU_DEP_2) | instskip(SKIP_1) | instid1(VALU_DEP_3)
	v_add_f64 v[0:1], v[164:165], v[0:1]
	v_add_f64 v[164:165], v[72:73], -v[84:85]
	v_add_f64 v[24:25], v[32:33], v[24:25]
	s_delay_alu instid0(VALU_DEP_2) | instskip(NEXT) | instid1(VALU_DEP_1)
	v_mul_f64 v[168:169], v[164:165], s[22:23]
	v_fma_f64 v[170:171], v[166:167], s[14:15], v[168:169]
	v_fma_f64 v[32:33], v[166:167], s[14:15], -v[168:169]
	s_delay_alu instid0(VALU_DEP_2) | instskip(SKIP_1) | instid1(VALU_DEP_3)
	v_add_f64 v[2:3], v[170:171], v[2:3]
	v_add_f64 v[170:171], v[78:79], -v[82:83]
	v_add_f64 v[26:27], v[32:33], v[26:27]
	s_delay_alu instid0(VALU_DEP_2) | instskip(NEXT) | instid1(VALU_DEP_1)
	v_mul_f64 v[174:175], v[170:171], s[24:25]
	v_fma_f64 v[176:177], v[172:173], s[20:21], -v[174:175]
	v_fma_f64 v[32:33], v[172:173], s[20:21], v[174:175]
	s_delay_alu instid0(VALU_DEP_2) | instskip(SKIP_1) | instid1(VALU_DEP_3)
	v_add_f64 v[0:1], v[176:177], v[0:1]
	v_add_f64 v[176:177], v[76:77], -v[80:81]
	v_add_f64 v[218:219], v[32:33], v[24:25]
	v_mul_f64 v[32:33], v[46:47], s[26:27]
	s_delay_alu instid0(VALU_DEP_3) | instskip(NEXT) | instid1(VALU_DEP_2)
	v_mul_f64 v[180:181], v[176:177], s[24:25]
	v_fma_f64 v[24:25], v[100:101], s[12:13], -v[32:33]
	v_fma_f64 v[32:33], v[100:101], s[12:13], v[32:33]
	s_delay_alu instid0(VALU_DEP_3) | instskip(SKIP_1) | instid1(VALU_DEP_4)
	v_fma_f64 v[34:35], v[178:179], s[20:21], -v[180:181]
	v_fma_f64 v[183:184], v[178:179], s[20:21], v[180:181]
	v_add_f64 v[24:25], v[52:53], v[24:25]
	s_delay_alu instid0(VALU_DEP_4) | instskip(NEXT) | instid1(VALU_DEP_4)
	v_add_f64 v[32:33], v[52:53], v[32:33]
	v_add_f64 v[220:221], v[34:35], v[26:27]
	v_mul_f64 v[34:35], v[102:103], s[18:19]
	v_add_f64 v[2:3], v[183:184], v[2:3]
	s_delay_alu instid0(VALU_DEP_2) | instskip(SKIP_1) | instid1(VALU_DEP_2)
	v_fma_f64 v[26:27], v[112:113], s[8:9], -v[34:35]
	v_fma_f64 v[34:35], v[112:113], s[8:9], v[34:35]
	v_add_f64 v[24:25], v[26:27], v[24:25]
	v_fma_f64 v[26:27], v[116:117], s[12:13], v[36:37]
	s_delay_alu instid0(VALU_DEP_3) | instskip(SKIP_2) | instid1(VALU_DEP_4)
	v_add_f64 v[32:33], v[34:35], v[32:33]
	v_fma_f64 v[34:35], v[116:117], s[12:13], -v[36:37]
	v_fma_f64 v[36:37], v[128:129], s[8:9], -v[38:39]
	v_add_f64 v[26:27], v[54:55], v[26:27]
	s_delay_alu instid0(VALU_DEP_3) | instskip(NEXT) | instid1(VALU_DEP_2)
	v_add_f64 v[34:35], v[54:55], v[34:35]
	v_add_f64 v[26:27], v[40:41], v[26:27]
	v_mul_f64 v[40:41], v[124:125], s[24:25]
	s_delay_alu instid0(VALU_DEP_3) | instskip(NEXT) | instid1(VALU_DEP_2)
	v_add_f64 v[34:35], v[36:37], v[34:35]
	v_fma_f64 v[42:43], v[130:131], s[20:21], -v[40:41]
	v_fma_f64 v[36:37], v[130:131], s[20:21], v[40:41]
	v_mul_f64 v[40:41], v[114:115], s[28:29]
	s_delay_alu instid0(VALU_DEP_3) | instskip(SKIP_1) | instid1(VALU_DEP_4)
	v_add_f64 v[24:25], v[42:43], v[24:25]
	v_mul_f64 v[42:43], v[126:127], s[24:25]
	v_add_f64 v[32:33], v[36:37], v[32:33]
	s_delay_alu instid0(VALU_DEP_2) | instskip(SKIP_2) | instid1(VALU_DEP_3)
	v_fma_f64 v[162:163], v[148:149], s[20:21], v[42:43]
	v_fma_f64 v[36:37], v[148:149], s[20:21], -v[42:43]
	v_mul_f64 v[42:43], v[118:119], s[24:25]
	v_add_f64 v[26:27], v[162:163], v[26:27]
	v_mul_f64 v[162:163], v[150:151], s[36:37]
	s_delay_alu instid0(VALU_DEP_4) | instskip(NEXT) | instid1(VALU_DEP_2)
	v_add_f64 v[34:35], v[36:37], v[34:35]
	v_fma_f64 v[168:169], v[152:153], s[14:15], -v[162:163]
	v_fma_f64 v[36:37], v[152:153], s[14:15], v[162:163]
	v_fma_f64 v[162:163], v[128:129], s[20:21], v[42:43]
	s_delay_alu instid0(VALU_DEP_3) | instskip(SKIP_1) | instid1(VALU_DEP_4)
	v_add_f64 v[24:25], v[168:169], v[24:25]
	v_mul_f64 v[168:169], v[154:155], s[36:37]
	v_add_f64 v[32:33], v[36:37], v[32:33]
	s_delay_alu instid0(VALU_DEP_2) | instskip(SKIP_1) | instid1(VALU_DEP_2)
	v_fma_f64 v[174:175], v[156:157], s[14:15], v[168:169]
	v_fma_f64 v[36:37], v[156:157], s[14:15], -v[168:169]
	v_add_f64 v[26:27], v[174:175], v[26:27]
	v_mul_f64 v[174:175], v[158:159], s[30:31]
	s_delay_alu instid0(VALU_DEP_3) | instskip(NEXT) | instid1(VALU_DEP_2)
	v_add_f64 v[34:35], v[36:37], v[34:35]
	v_fma_f64 v[180:181], v[160:161], s[2:3], -v[174:175]
	v_fma_f64 v[36:37], v[160:161], s[2:3], v[174:175]
	s_delay_alu instid0(VALU_DEP_2) | instskip(SKIP_1) | instid1(VALU_DEP_3)
	v_add_f64 v[24:25], v[180:181], v[24:25]
	v_mul_f64 v[180:181], v[164:165], s[30:31]
	v_add_f64 v[32:33], v[36:37], v[32:33]
	s_delay_alu instid0(VALU_DEP_2) | instskip(SKIP_1) | instid1(VALU_DEP_2)
	v_fma_f64 v[183:184], v[166:167], s[2:3], v[180:181]
	v_fma_f64 v[36:37], v[166:167], s[2:3], -v[180:181]
	v_add_f64 v[26:27], v[183:184], v[26:27]
	v_mul_f64 v[183:184], v[170:171], s[34:35]
	s_delay_alu instid0(VALU_DEP_3) | instskip(NEXT) | instid1(VALU_DEP_2)
	v_add_f64 v[34:35], v[36:37], v[34:35]
	v_fma_f64 v[185:186], v[172:173], s[16:17], -v[183:184]
	v_fma_f64 v[36:37], v[172:173], s[16:17], v[183:184]
	s_delay_alu instid0(VALU_DEP_2) | instskip(SKIP_1) | instid1(VALU_DEP_3)
	v_add_f64 v[24:25], v[185:186], v[24:25]
	v_mul_f64 v[185:186], v[176:177], s[34:35]
	v_add_f64 v[222:223], v[36:37], v[32:33]
	v_mul_f64 v[36:37], v[46:47], s[28:29]
	s_delay_alu instid0(VALU_DEP_3) | instskip(SKIP_1) | instid1(VALU_DEP_3)
	v_fma_f64 v[38:39], v[178:179], s[16:17], -v[185:186]
	v_fma_f64 v[187:188], v[178:179], s[16:17], v[185:186]
	v_fma_f64 v[32:33], v[100:101], s[2:3], -v[36:37]
	v_fma_f64 v[36:37], v[100:101], s[2:3], v[36:37]
	s_delay_alu instid0(VALU_DEP_4) | instskip(SKIP_1) | instid1(VALU_DEP_4)
	v_add_f64 v[224:225], v[38:39], v[34:35]
	v_mul_f64 v[38:39], v[102:103], s[24:25]
	v_add_f64 v[32:33], v[52:53], v[32:33]
	s_delay_alu instid0(VALU_DEP_4) | instskip(SKIP_1) | instid1(VALU_DEP_4)
	v_add_f64 v[36:37], v[52:53], v[36:37]
	v_add_f64 v[26:27], v[187:188], v[26:27]
	v_fma_f64 v[34:35], v[112:113], s[20:21], -v[38:39]
	v_fma_f64 v[38:39], v[112:113], s[20:21], v[38:39]
	s_delay_alu instid0(VALU_DEP_2) | instskip(SKIP_1) | instid1(VALU_DEP_3)
	v_add_f64 v[32:33], v[34:35], v[32:33]
	v_fma_f64 v[34:35], v[116:117], s[2:3], v[40:41]
	v_add_f64 v[36:37], v[38:39], v[36:37]
	v_fma_f64 v[38:39], v[116:117], s[2:3], -v[40:41]
	v_fma_f64 v[40:41], v[128:129], s[20:21], -v[42:43]
	s_delay_alu instid0(VALU_DEP_4) | instskip(NEXT) | instid1(VALU_DEP_3)
	v_add_f64 v[34:35], v[54:55], v[34:35]
	v_add_f64 v[38:39], v[54:55], v[38:39]
	s_delay_alu instid0(VALU_DEP_2) | instskip(SKIP_1) | instid1(VALU_DEP_3)
	v_add_f64 v[34:35], v[162:163], v[34:35]
	v_mul_f64 v[162:163], v[124:125], s[40:41]
	v_add_f64 v[38:39], v[40:41], v[38:39]
	s_delay_alu instid0(VALU_DEP_2) | instskip(SKIP_2) | instid1(VALU_DEP_3)
	v_fma_f64 v[168:169], v[130:131], s[8:9], -v[162:163]
	v_fma_f64 v[40:41], v[130:131], s[8:9], v[162:163]
	v_mul_f64 v[162:163], v[114:115], s[18:19]
	v_add_f64 v[32:33], v[168:169], v[32:33]
	v_mul_f64 v[168:169], v[126:127], s[40:41]
	s_delay_alu instid0(VALU_DEP_4) | instskip(NEXT) | instid1(VALU_DEP_2)
	v_add_f64 v[36:37], v[40:41], v[36:37]
	v_fma_f64 v[174:175], v[148:149], s[8:9], v[168:169]
	v_fma_f64 v[40:41], v[148:149], s[8:9], -v[168:169]
	v_mul_f64 v[168:169], v[118:119], s[36:37]
	s_delay_alu instid0(VALU_DEP_3) | instskip(SKIP_1) | instid1(VALU_DEP_4)
	v_add_f64 v[34:35], v[174:175], v[34:35]
	v_mul_f64 v[174:175], v[150:151], s[34:35]
	v_add_f64 v[38:39], v[40:41], v[38:39]
	s_delay_alu instid0(VALU_DEP_2) | instskip(SKIP_2) | instid1(VALU_DEP_3)
	v_fma_f64 v[180:181], v[152:153], s[16:17], -v[174:175]
	v_fma_f64 v[40:41], v[152:153], s[16:17], v[174:175]
	v_fma_f64 v[174:175], v[128:129], s[14:15], v[168:169]
	v_add_f64 v[32:33], v[180:181], v[32:33]
	v_mul_f64 v[180:181], v[154:155], s[34:35]
	s_delay_alu instid0(VALU_DEP_4) | instskip(NEXT) | instid1(VALU_DEP_2)
	v_add_f64 v[36:37], v[40:41], v[36:37]
	v_fma_f64 v[183:184], v[156:157], s[16:17], v[180:181]
	v_fma_f64 v[40:41], v[156:157], s[16:17], -v[180:181]
	s_delay_alu instid0(VALU_DEP_2) | instskip(SKIP_1) | instid1(VALU_DEP_3)
	v_add_f64 v[34:35], v[183:184], v[34:35]
	v_mul_f64 v[183:184], v[158:159], s[26:27]
	v_add_f64 v[38:39], v[40:41], v[38:39]
	s_delay_alu instid0(VALU_DEP_2) | instskip(SKIP_1) | instid1(VALU_DEP_2)
	v_fma_f64 v[185:186], v[160:161], s[12:13], -v[183:184]
	v_fma_f64 v[40:41], v[160:161], s[12:13], v[183:184]
	v_add_f64 v[32:33], v[185:186], v[32:33]
	v_mul_f64 v[185:186], v[164:165], s[26:27]
	s_delay_alu instid0(VALU_DEP_3) | instskip(NEXT) | instid1(VALU_DEP_2)
	v_add_f64 v[36:37], v[40:41], v[36:37]
	v_fma_f64 v[187:188], v[166:167], s[12:13], v[185:186]
	v_fma_f64 v[40:41], v[166:167], s[12:13], -v[185:186]
	s_delay_alu instid0(VALU_DEP_2) | instskip(SKIP_1) | instid1(VALU_DEP_3)
	v_add_f64 v[34:35], v[187:188], v[34:35]
	v_mul_f64 v[187:188], v[170:171], s[22:23]
	v_add_f64 v[38:39], v[40:41], v[38:39]
	s_delay_alu instid0(VALU_DEP_2) | instskip(SKIP_1) | instid1(VALU_DEP_2)
	v_fma_f64 v[189:190], v[172:173], s[14:15], -v[187:188]
	v_fma_f64 v[40:41], v[172:173], s[14:15], v[187:188]
	v_add_f64 v[32:33], v[189:190], v[32:33]
	v_mul_f64 v[189:190], v[176:177], s[22:23]
	s_delay_alu instid0(VALU_DEP_3) | instskip(SKIP_1) | instid1(VALU_DEP_3)
	v_add_f64 v[226:227], v[40:41], v[36:37]
	v_mul_f64 v[40:41], v[46:47], s[18:19]
	v_fma_f64 v[42:43], v[178:179], s[14:15], -v[189:190]
	v_fma_f64 v[191:192], v[178:179], s[14:15], v[189:190]
	s_delay_alu instid0(VALU_DEP_3) | instskip(SKIP_1) | instid1(VALU_DEP_4)
	v_fma_f64 v[36:37], v[100:101], s[8:9], -v[40:41]
	v_fma_f64 v[40:41], v[100:101], s[8:9], v[40:41]
	v_add_f64 v[228:229], v[42:43], v[38:39]
	v_mul_f64 v[42:43], v[102:103], s[36:37]
	s_delay_alu instid0(VALU_DEP_4) | instskip(NEXT) | instid1(VALU_DEP_4)
	v_add_f64 v[36:37], v[52:53], v[36:37]
	v_add_f64 v[40:41], v[52:53], v[40:41]
	;; [unrolled: 1-line block ×3, first 2 shown]
	s_delay_alu instid0(VALU_DEP_4) | instskip(SKIP_1) | instid1(VALU_DEP_2)
	v_fma_f64 v[38:39], v[112:113], s[14:15], -v[42:43]
	v_fma_f64 v[42:43], v[112:113], s[14:15], v[42:43]
	v_add_f64 v[36:37], v[38:39], v[36:37]
	v_fma_f64 v[38:39], v[116:117], s[8:9], v[162:163]
	s_delay_alu instid0(VALU_DEP_3) | instskip(SKIP_2) | instid1(VALU_DEP_4)
	v_add_f64 v[40:41], v[42:43], v[40:41]
	v_fma_f64 v[42:43], v[116:117], s[8:9], -v[162:163]
	v_fma_f64 v[162:163], v[128:129], s[14:15], -v[168:169]
	v_add_f64 v[38:39], v[54:55], v[38:39]
	s_delay_alu instid0(VALU_DEP_3) | instskip(NEXT) | instid1(VALU_DEP_2)
	v_add_f64 v[42:43], v[54:55], v[42:43]
	v_add_f64 v[38:39], v[174:175], v[38:39]
	v_mul_f64 v[174:175], v[124:125], s[34:35]
	s_delay_alu instid0(VALU_DEP_3) | instskip(NEXT) | instid1(VALU_DEP_2)
	v_add_f64 v[42:43], v[162:163], v[42:43]
	v_fma_f64 v[180:181], v[130:131], s[16:17], -v[174:175]
	v_fma_f64 v[162:163], v[130:131], s[16:17], v[174:175]
	v_mul_f64 v[174:175], v[114:115], s[22:23]
	v_mul_f64 v[114:115], v[114:115], s[24:25]
	s_delay_alu instid0(VALU_DEP_4) | instskip(SKIP_2) | instid1(VALU_DEP_2)
	v_add_f64 v[36:37], v[180:181], v[36:37]
	v_mul_f64 v[180:181], v[126:127], s[34:35]
	v_add_f64 v[40:41], v[162:163], v[40:41]
	v_fma_f64 v[183:184], v[148:149], s[16:17], v[180:181]
	v_fma_f64 v[162:163], v[148:149], s[16:17], -v[180:181]
	v_mul_f64 v[180:181], v[118:119], s[30:31]
	v_mul_f64 v[118:119], v[118:119], s[34:35]
	s_delay_alu instid0(VALU_DEP_4) | instskip(SKIP_2) | instid1(VALU_DEP_2)
	v_add_f64 v[38:39], v[183:184], v[38:39]
	v_mul_f64 v[183:184], v[150:151], s[28:29]
	v_add_f64 v[42:43], v[162:163], v[42:43]
	v_fma_f64 v[185:186], v[152:153], s[2:3], -v[183:184]
	v_fma_f64 v[162:163], v[152:153], s[2:3], v[183:184]
	v_fma_f64 v[183:184], v[128:129], s[2:3], v[180:181]
	s_delay_alu instid0(VALU_DEP_3) | instskip(SKIP_1) | instid1(VALU_DEP_4)
	v_add_f64 v[36:37], v[185:186], v[36:37]
	v_mul_f64 v[185:186], v[154:155], s[28:29]
	v_add_f64 v[40:41], v[162:163], v[40:41]
	s_delay_alu instid0(VALU_DEP_2) | instskip(SKIP_1) | instid1(VALU_DEP_2)
	v_fma_f64 v[187:188], v[156:157], s[2:3], v[185:186]
	v_fma_f64 v[162:163], v[156:157], s[2:3], -v[185:186]
	v_add_f64 v[38:39], v[187:188], v[38:39]
	v_mul_f64 v[187:188], v[158:159], s[44:45]
	s_delay_alu instid0(VALU_DEP_3) | instskip(NEXT) | instid1(VALU_DEP_2)
	v_add_f64 v[42:43], v[162:163], v[42:43]
	v_fma_f64 v[189:190], v[160:161], s[20:21], -v[187:188]
	v_fma_f64 v[162:163], v[160:161], s[20:21], v[187:188]
	s_delay_alu instid0(VALU_DEP_2) | instskip(SKIP_1) | instid1(VALU_DEP_3)
	v_add_f64 v[36:37], v[189:190], v[36:37]
	v_mul_f64 v[189:190], v[164:165], s[44:45]
	v_add_f64 v[40:41], v[162:163], v[40:41]
	s_delay_alu instid0(VALU_DEP_2) | instskip(SKIP_1) | instid1(VALU_DEP_2)
	v_fma_f64 v[191:192], v[166:167], s[20:21], v[189:190]
	v_fma_f64 v[162:163], v[166:167], s[20:21], -v[189:190]
	v_add_f64 v[38:39], v[191:192], v[38:39]
	v_mul_f64 v[191:192], v[170:171], s[42:43]
	s_delay_alu instid0(VALU_DEP_3) | instskip(NEXT) | instid1(VALU_DEP_2)
	v_add_f64 v[42:43], v[162:163], v[42:43]
	v_fma_f64 v[193:194], v[172:173], s[12:13], -v[191:192]
	v_fma_f64 v[162:163], v[172:173], s[12:13], v[191:192]
	s_delay_alu instid0(VALU_DEP_2) | instskip(SKIP_1) | instid1(VALU_DEP_3)
	v_add_f64 v[36:37], v[193:194], v[36:37]
	v_mul_f64 v[193:194], v[176:177], s[42:43]
	v_add_f64 v[230:231], v[162:163], v[40:41]
	v_mul_f64 v[162:163], v[46:47], s[22:23]
	v_mul_f64 v[46:47], v[46:47], s[24:25]
	s_delay_alu instid0(VALU_DEP_4) | instskip(SKIP_1) | instid1(VALU_DEP_4)
	v_fma_f64 v[168:169], v[178:179], s[12:13], -v[193:194]
	v_fma_f64 v[195:196], v[178:179], s[12:13], v[193:194]
	v_fma_f64 v[40:41], v[100:101], s[14:15], -v[162:163]
	v_fma_f64 v[162:163], v[100:101], s[14:15], v[162:163]
	s_delay_alu instid0(VALU_DEP_4) | instskip(SKIP_1) | instid1(VALU_DEP_4)
	v_add_f64 v[232:233], v[168:169], v[42:43]
	v_mul_f64 v[168:169], v[102:103], s[30:31]
	v_add_f64 v[40:41], v[52:53], v[40:41]
	s_delay_alu instid0(VALU_DEP_4) | instskip(SKIP_4) | instid1(VALU_DEP_2)
	v_add_f64 v[162:163], v[52:53], v[162:163]
	v_add_f64 v[38:39], v[195:196], v[38:39]
	v_mul_f64 v[102:103], v[102:103], s[34:35]
	v_fma_f64 v[42:43], v[112:113], s[2:3], -v[168:169]
	v_fma_f64 v[168:169], v[112:113], s[2:3], v[168:169]
	v_add_f64 v[40:41], v[42:43], v[40:41]
	v_fma_f64 v[42:43], v[116:117], s[14:15], v[174:175]
	s_delay_alu instid0(VALU_DEP_3) | instskip(SKIP_2) | instid1(VALU_DEP_4)
	v_add_f64 v[162:163], v[168:169], v[162:163]
	v_fma_f64 v[168:169], v[116:117], s[14:15], -v[174:175]
	v_fma_f64 v[174:175], v[128:129], s[2:3], -v[180:181]
	v_add_f64 v[42:43], v[54:55], v[42:43]
	s_delay_alu instid0(VALU_DEP_3) | instskip(NEXT) | instid1(VALU_DEP_2)
	v_add_f64 v[168:169], v[54:55], v[168:169]
	v_add_f64 v[42:43], v[183:184], v[42:43]
	v_mul_f64 v[183:184], v[124:125], s[26:27]
	s_delay_alu instid0(VALU_DEP_3) | instskip(NEXT) | instid1(VALU_DEP_2)
	v_add_f64 v[168:169], v[174:175], v[168:169]
	v_fma_f64 v[185:186], v[130:131], s[12:13], -v[183:184]
	v_fma_f64 v[174:175], v[130:131], s[12:13], v[183:184]
	s_delay_alu instid0(VALU_DEP_2) | instskip(SKIP_1) | instid1(VALU_DEP_3)
	v_add_f64 v[40:41], v[185:186], v[40:41]
	v_mul_f64 v[185:186], v[126:127], s[26:27]
	v_add_f64 v[162:163], v[174:175], v[162:163]
	s_delay_alu instid0(VALU_DEP_2) | instskip(SKIP_1) | instid1(VALU_DEP_2)
	v_fma_f64 v[187:188], v[148:149], s[12:13], v[185:186]
	v_fma_f64 v[174:175], v[148:149], s[12:13], -v[185:186]
	v_add_f64 v[42:43], v[187:188], v[42:43]
	v_mul_f64 v[187:188], v[150:151], s[44:45]
	s_delay_alu instid0(VALU_DEP_3) | instskip(SKIP_1) | instid1(VALU_DEP_3)
	v_add_f64 v[168:169], v[174:175], v[168:169]
	v_mul_f64 v[150:151], v[150:151], s[42:43]
	v_fma_f64 v[189:190], v[152:153], s[20:21], -v[187:188]
	v_fma_f64 v[174:175], v[152:153], s[20:21], v[187:188]
	s_delay_alu instid0(VALU_DEP_2) | instskip(SKIP_1) | instid1(VALU_DEP_3)
	v_add_f64 v[40:41], v[189:190], v[40:41]
	v_mul_f64 v[189:190], v[154:155], s[44:45]
	v_add_f64 v[162:163], v[174:175], v[162:163]
	v_mul_f64 v[154:155], v[154:155], s[42:43]
	s_delay_alu instid0(VALU_DEP_3) | instskip(SKIP_1) | instid1(VALU_DEP_2)
	v_fma_f64 v[191:192], v[156:157], s[20:21], v[189:190]
	v_fma_f64 v[174:175], v[156:157], s[20:21], -v[189:190]
	v_add_f64 v[42:43], v[191:192], v[42:43]
	v_mul_f64 v[191:192], v[158:159], s[34:35]
	s_delay_alu instid0(VALU_DEP_3) | instskip(SKIP_1) | instid1(VALU_DEP_3)
	v_add_f64 v[168:169], v[174:175], v[168:169]
	v_mul_f64 v[158:159], v[158:159], s[18:19]
	v_fma_f64 v[193:194], v[160:161], s[16:17], -v[191:192]
	v_fma_f64 v[174:175], v[160:161], s[16:17], v[191:192]
	s_delay_alu instid0(VALU_DEP_2) | instskip(SKIP_1) | instid1(VALU_DEP_3)
	v_add_f64 v[40:41], v[193:194], v[40:41]
	v_mul_f64 v[193:194], v[164:165], s[34:35]
	v_add_f64 v[162:163], v[174:175], v[162:163]
	v_mul_f64 v[164:165], v[164:165], s[18:19]
	s_delay_alu instid0(VALU_DEP_3) | instskip(SKIP_1) | instid1(VALU_DEP_2)
	v_fma_f64 v[195:196], v[166:167], s[16:17], v[193:194]
	v_fma_f64 v[174:175], v[166:167], s[16:17], -v[193:194]
	v_add_f64 v[42:43], v[195:196], v[42:43]
	v_mul_f64 v[195:196], v[170:171], s[18:19]
	s_delay_alu instid0(VALU_DEP_3) | instskip(NEXT) | instid1(VALU_DEP_2)
	v_add_f64 v[168:169], v[174:175], v[168:169]
	v_fma_f64 v[197:198], v[172:173], s[8:9], -v[195:196]
	v_fma_f64 v[174:175], v[172:173], s[8:9], v[195:196]
	s_delay_alu instid0(VALU_DEP_2) | instskip(SKIP_1) | instid1(VALU_DEP_3)
	v_add_f64 v[40:41], v[197:198], v[40:41]
	v_mul_f64 v[197:198], v[176:177], s[18:19]
	v_add_f64 v[234:235], v[174:175], v[162:163]
	v_fma_f64 v[162:163], v[100:101], s[20:21], -v[46:47]
	v_fma_f64 v[174:175], v[128:129], s[16:17], v[118:119]
	v_fma_f64 v[46:47], v[100:101], s[20:21], v[46:47]
	v_fma_f64 v[100:101], v[116:117], s[20:21], -v[114:115]
	v_fma_f64 v[180:181], v[178:179], s[8:9], -v[197:198]
	v_fma_f64 v[199:200], v[178:179], s[8:9], v[197:198]
	v_add_f64 v[162:163], v[52:53], v[162:163]
	v_add_f64 v[46:47], v[52:53], v[46:47]
	;; [unrolled: 1-line block ×4, first 2 shown]
	v_fma_f64 v[168:169], v[112:113], s[16:17], -v[102:103]
	v_fma_f64 v[102:103], v[112:113], s[16:17], v[102:103]
	v_fma_f64 v[112:113], v[128:129], s[16:17], -v[118:119]
	v_add_f64 v[42:43], v[199:200], v[42:43]
	s_delay_alu instid0(VALU_DEP_4) | instskip(SKIP_1) | instid1(VALU_DEP_4)
	v_add_f64 v[162:163], v[168:169], v[162:163]
	v_fma_f64 v[168:169], v[116:117], s[20:21], v[114:115]
	v_add_f64 v[100:101], v[112:113], v[100:101]
	v_add_f64 v[46:47], v[102:103], v[46:47]
	s_delay_alu instid0(VALU_DEP_3) | instskip(NEXT) | instid1(VALU_DEP_1)
	v_add_f64 v[168:169], v[54:55], v[168:169]
	v_add_f64 v[168:169], v[174:175], v[168:169]
	v_mul_f64 v[174:175], v[124:125], s[22:23]
	s_delay_alu instid0(VALU_DEP_1) | instskip(SKIP_1) | instid1(VALU_DEP_2)
	v_fma_f64 v[124:125], v[130:131], s[14:15], -v[174:175]
	v_fma_f64 v[102:103], v[130:131], s[14:15], v[174:175]
	v_add_f64 v[124:125], v[124:125], v[162:163]
	v_mul_f64 v[162:163], v[126:127], s[22:23]
	s_delay_alu instid0(VALU_DEP_3) | instskip(SKIP_1) | instid1(VALU_DEP_3)
	v_add_f64 v[46:47], v[102:103], v[46:47]
	v_fma_f64 v[102:103], v[152:153], s[12:13], v[150:151]
	v_fma_f64 v[126:127], v[148:149], s[14:15], v[162:163]
	v_fma_f64 v[112:113], v[148:149], s[14:15], -v[162:163]
	s_delay_alu instid0(VALU_DEP_3) | instskip(SKIP_1) | instid1(VALU_DEP_4)
	v_add_f64 v[46:47], v[102:103], v[46:47]
	v_fma_f64 v[102:103], v[160:161], s[8:9], v[158:159]
	v_add_f64 v[126:127], v[126:127], v[168:169]
	v_fma_f64 v[168:169], v[152:153], s[12:13], -v[150:151]
	v_add_f64 v[100:101], v[112:113], v[100:101]
	v_fma_f64 v[112:113], v[156:157], s[12:13], -v[154:155]
	v_add_f64 v[46:47], v[102:103], v[46:47]
	s_delay_alu instid0(VALU_DEP_4) | instskip(SKIP_1) | instid1(VALU_DEP_4)
	v_add_f64 v[124:125], v[168:169], v[124:125]
	v_fma_f64 v[168:169], v[156:157], s[12:13], v[154:155]
	v_add_f64 v[100:101], v[112:113], v[100:101]
	v_fma_f64 v[112:113], v[166:167], s[8:9], -v[164:165]
	s_delay_alu instid0(VALU_DEP_3) | instskip(SKIP_1) | instid1(VALU_DEP_3)
	v_add_f64 v[126:127], v[168:169], v[126:127]
	v_fma_f64 v[168:169], v[160:161], s[8:9], -v[158:159]
	v_add_f64 v[100:101], v[112:113], v[100:101]
	s_delay_alu instid0(VALU_DEP_2) | instskip(SKIP_1) | instid1(VALU_DEP_1)
	v_add_f64 v[124:125], v[168:169], v[124:125]
	v_fma_f64 v[168:169], v[166:167], s[8:9], v[164:165]
	v_add_f64 v[126:127], v[168:169], v[126:127]
	v_mul_f64 v[168:169], v[170:171], s[30:31]
	v_mul_f64 v[170:171], v[176:177], s[30:31]
	s_delay_alu instid0(VALU_DEP_2) | instskip(NEXT) | instid1(VALU_DEP_2)
	v_fma_f64 v[176:177], v[172:173], s[2:3], -v[168:169]
	v_fma_f64 v[112:113], v[178:179], s[2:3], -v[170:171]
	v_fma_f64 v[102:103], v[172:173], s[2:3], v[168:169]
	s_delay_alu instid0(VALU_DEP_3) | instskip(NEXT) | instid1(VALU_DEP_3)
	v_add_f64 v[124:125], v[176:177], v[124:125]
	v_add_f64 v[130:131], v[112:113], v[100:101]
	scratch_load_b32 v101, off, off         ; 4-byte Folded Reload
	v_fma_f64 v[176:177], v[178:179], s[2:3], v[170:171]
	v_add_f64 v[128:129], v[102:103], v[46:47]
	s_load_b64 s[2:3], s[0:1], 0x8
	s_waitcnt vmcnt(0) lgkmcnt(0)
	s_barrier
	buffer_gl0_inv
	v_add_f64 v[126:127], v[176:177], v[126:127]
	v_mul_lo_u16 v46, v101, 13
	v_add_co_u32 v100, s0, 0x5b, v101
	s_delay_alu instid0(VALU_DEP_2) | instskip(NEXT) | instid1(VALU_DEP_1)
	v_and_b32_e32 v46, 0xffff, v46
	v_lshl_add_u32 v102, v46, 4, v201
	ds_store_b128 v102, v[4:7]
	ds_store_b128 v102, v[12:15] offset:16
	ds_store_b128 v102, v[20:23] offset:32
	;; [unrolled: 1-line block ×12, first 2 shown]
	v_add_co_ci_u32_e64 v4, null, 0, 0, s0
	v_mul_u32_u24_e32 v4, 13, v100
	scratch_store_b32 off, v4, off offset:796 ; 4-byte Folded Spill
	s_and_saveexec_b32 s0, vcc_lo
	s_cbranch_execz .LBB0_7
; %bb.6:
	v_add_f64 v[4:5], v[54:55], v[58:59]
	v_add_f64 v[6:7], v[52:53], v[56:57]
	s_delay_alu instid0(VALU_DEP_2) | instskip(NEXT) | instid1(VALU_DEP_2)
	v_add_f64 v[4:5], v[4:5], v[62:63]
	v_add_f64 v[6:7], v[6:7], v[60:61]
	s_delay_alu instid0(VALU_DEP_2) | instskip(NEXT) | instid1(VALU_DEP_2)
	;; [unrolled: 3-line block ×11, first 2 shown]
	v_add_f64 v[6:7], v[4:5], v[122:123]
	v_add_f64 v[4:5], v[8:9], v[120:121]
	v_mul_u32_u24_e32 v8, 13, v100
	s_delay_alu instid0(VALU_DEP_1)
	v_lshl_add_u32 v8, v8, 4, v201
	ds_store_b128 v8, v[24:27] offset:32
	ds_store_b128 v8, v[32:35] offset:48
	;; [unrolled: 1-line block ×10, first 2 shown]
	ds_store_b128 v8, v[4:7]
	ds_store_b128 v8, v[0:3] offset:16
	ds_store_b128 v8, v[218:221] offset:192
.LBB0_7:
	s_or_b32 exec_lo, exec_lo, s0
	s_waitcnt lgkmcnt(0)
	s_waitcnt_vscnt null, 0x0
	s_barrier
	buffer_gl0_inv
	ds_load_b128 v[8:11], v182
	ds_load_b128 v[4:7], v182 offset:1456
	ds_load_b128 v[80:83], v182 offset:3120
	;; [unrolled: 1-line block ×13, first 2 shown]
	v_cmp_gt_u16_e64 s0, 13, v101
	s_delay_alu instid0(VALU_DEP_1)
	s_and_saveexec_b32 s1, s0
	s_cbranch_execz .LBB0_9
; %bb.8:
	ds_load_b128 v[0:3], v182 offset:2912
	ds_load_b128 v[24:27], v182 offset:6032
	;; [unrolled: 1-line block ×7, first 2 shown]
.LBB0_9:
	s_or_b32 exec_lo, exec_lo, s1
	v_and_b32_e32 v46, 0xff, v101
	s_mov_b32 s20, 0xe976ee23
	s_mov_b32 s21, 0xbfe11646
	;; [unrolled: 1-line block ×4, first 2 shown]
	v_mul_lo_u16 v46, 0x4f, v46
	s_mov_b32 s24, 0x37e14327
	s_mov_b32 s9, 0x3fac98ee
	;; [unrolled: 1-line block ×4, first 2 shown]
	v_lshrrev_b16 v88, 10, v46
	s_mov_b32 s16, 0xaaaaaaaa
	s_mov_b32 s18, 0x5476071b
	;; [unrolled: 1-line block ×4, first 2 shown]
	v_mul_lo_u16 v46, v88, 13
	s_mov_b32 s19, 0x3fe77f67
	s_mov_b32 s27, 0xbfe77f67
	;; [unrolled: 1-line block ×4, first 2 shown]
	v_sub_nc_u16 v46, v101, v46
	s_mov_b32 s28, s22
	s_mov_b32 s26, s18
	;; [unrolled: 1-line block ×4, first 2 shown]
	v_and_b32_e32 v89, 0xff, v46
	s_delay_alu instid0(VALU_DEP_1) | instskip(NEXT) | instid1(VALU_DEP_1)
	v_mul_u32_u24_e32 v46, 6, v89
	v_lshlrev_b32_e32 v84, 4, v46
	s_clause 0x1
	global_load_b128 v[48:51], v84, s[2:3]
	global_load_b128 v[103:106], v84, s[2:3] offset:16
	s_waitcnt vmcnt(1) lgkmcnt(11)
	v_mul_f64 v[46:47], v[82:83], v[50:51]
	scratch_store_b128 off, v[48:51], off offset:360 ; 16-byte Folded Spill
	s_waitcnt vmcnt(0)
	scratch_store_b128 off, v[103:106], off offset:460 ; 16-byte Folded Spill
	v_fma_f64 v[92:93], v[80:81], v[48:49], -v[46:47]
	v_mul_f64 v[46:47], v[80:81], v[50:51]
	s_delay_alu instid0(VALU_DEP_1)
	v_fma_f64 v[94:95], v[82:83], v[48:49], v[46:47]
	s_clause 0x1
	global_load_b128 v[48:51], v84, s[2:3] offset:80
	global_load_b128 v[80:83], v84, s[2:3] offset:64
	s_waitcnt lgkmcnt(9)
	v_mul_f64 v[46:47], v[78:79], v[105:106]
	s_delay_alu instid0(VALU_DEP_1) | instskip(SKIP_1) | instid1(VALU_DEP_1)
	v_fma_f64 v[96:97], v[76:77], v[103:104], -v[46:47]
	v_mul_f64 v[46:47], v[76:77], v[105:106]
	v_fma_f64 v[76:77], v[78:79], v[103:104], v[46:47]
	s_waitcnt vmcnt(1) lgkmcnt(1)
	v_mul_f64 v[46:47], v[74:75], v[50:51]
	scratch_store_b128 off, v[48:51], off offset:396 ; 16-byte Folded Spill
	s_waitcnt vmcnt(0)
	scratch_store_b128 off, v[80:83], off offset:476 ; 16-byte Folded Spill
	v_fma_f64 v[78:79], v[72:73], v[48:49], -v[46:47]
	v_mul_f64 v[46:47], v[72:73], v[50:51]
	s_delay_alu instid0(VALU_DEP_1) | instskip(SKIP_1) | instid1(VALU_DEP_1)
	v_fma_f64 v[72:73], v[74:75], v[48:49], v[46:47]
	v_mul_f64 v[46:47], v[70:71], v[82:83]
	v_fma_f64 v[74:75], v[68:69], v[80:81], -v[46:47]
	v_mul_f64 v[46:47], v[68:69], v[82:83]
	s_delay_alu instid0(VALU_DEP_1) | instskip(SKIP_1) | instid1(VALU_DEP_1)
	v_fma_f64 v[68:69], v[70:71], v[80:81], v[46:47]
	v_and_b32_e32 v46, 0xff, v100
	v_mul_lo_u16 v46, 0x4f, v46
	s_delay_alu instid0(VALU_DEP_1) | instskip(NEXT) | instid1(VALU_DEP_1)
	v_lshrrev_b16 v90, 10, v46
	v_mul_lo_u16 v46, v90, 13
	s_delay_alu instid0(VALU_DEP_1) | instskip(NEXT) | instid1(VALU_DEP_1)
	v_sub_nc_u16 v46, v100, v46
	v_and_b32_e32 v91, 0xff, v46
	s_delay_alu instid0(VALU_DEP_1) | instskip(NEXT) | instid1(VALU_DEP_1)
	v_mul_u32_u24_e32 v46, 6, v91
	v_lshlrev_b32_e32 v85, 4, v46
	s_clause 0x1
	global_load_b128 v[80:83], v85, s[2:3]
	global_load_b128 v[103:106], v85, s[2:3] offset:16
	s_waitcnt vmcnt(1)
	v_mul_f64 v[46:47], v[66:67], v[82:83]
	v_mul_f64 v[48:49], v[64:65], v[82:83]
	scratch_store_b128 off, v[80:83], off offset:412 ; 16-byte Folded Spill
	s_waitcnt vmcnt(0)
	scratch_store_b128 off, v[103:106], off offset:428 ; 16-byte Folded Spill
	v_fma_f64 v[46:47], v[64:65], v[80:81], -v[46:47]
	v_fma_f64 v[64:65], v[66:67], v[80:81], v[48:49]
	v_mul_f64 v[48:49], v[62:63], v[105:106]
	s_delay_alu instid0(VALU_DEP_1) | instskip(SKIP_1) | instid1(VALU_DEP_1)
	v_fma_f64 v[66:67], v[60:61], v[103:104], -v[48:49]
	v_mul_f64 v[48:49], v[60:61], v[105:106]
	v_fma_f64 v[60:61], v[62:63], v[103:104], v[48:49]
	s_clause 0x1
	global_load_b128 v[80:83], v85, s[2:3] offset:80
	global_load_b128 v[103:106], v85, s[2:3] offset:64
	s_waitcnt vmcnt(1) lgkmcnt(0)
	v_mul_f64 v[48:49], v[58:59], v[82:83]
	s_waitcnt vmcnt(0)
	v_mul_f64 v[50:51], v[52:53], v[105:106]
	s_clause 0x1
	scratch_store_b128 off, v[80:83], off offset:380
	scratch_store_b128 off, v[103:106], off offset:444
	v_fma_f64 v[62:63], v[56:57], v[80:81], -v[48:49]
	v_mul_f64 v[48:49], v[56:57], v[82:83]
	v_fma_f64 v[50:51], v[54:55], v[103:104], v[50:51]
	s_delay_alu instid0(VALU_DEP_3) | instskip(NEXT) | instid1(VALU_DEP_3)
	v_add_f64 v[113:114], v[46:47], v[62:63]
	v_fma_f64 v[56:57], v[58:59], v[80:81], v[48:49]
	v_mul_f64 v[48:49], v[54:55], v[105:106]
	s_delay_alu instid0(VALU_DEP_2) | instskip(NEXT) | instid1(VALU_DEP_2)
	v_add_f64 v[121:122], v[64:65], v[56:57]
	v_fma_f64 v[48:49], v[52:53], v[103:104], -v[48:49]
	s_clause 0x1
	global_load_b128 v[80:83], v84, s[2:3] offset:32
	global_load_b128 v[103:106], v84, s[2:3] offset:48
	v_add_f64 v[56:57], v[64:65], -v[56:57]
	v_add_f64 v[115:116], v[66:67], v[48:49]
	v_add_f64 v[48:49], v[66:67], -v[48:49]
	s_delay_alu instid0(VALU_DEP_2)
	v_add_f64 v[119:120], v[115:116], v[113:114]
	s_waitcnt vmcnt(1)
	v_mul_f64 v[52:53], v[30:31], v[82:83]
	scratch_store_b128 off, v[80:83], off offset:508 ; 16-byte Folded Spill
	s_waitcnt vmcnt(0)
	scratch_store_b128 off, v[103:106], off offset:524 ; 16-byte Folded Spill
	v_fma_f64 v[70:71], v[28:29], v[80:81], -v[52:53]
	v_mul_f64 v[28:29], v[28:29], v[82:83]
	s_delay_alu instid0(VALU_DEP_1) | instskip(SKIP_1) | instid1(VALU_DEP_1)
	v_fma_f64 v[54:55], v[30:31], v[80:81], v[28:29]
	v_mul_f64 v[28:29], v[22:23], v[105:106]
	v_fma_f64 v[82:83], v[20:21], v[103:104], -v[28:29]
	v_mul_f64 v[20:21], v[20:21], v[105:106]
	s_delay_alu instid0(VALU_DEP_1)
	v_fma_f64 v[80:81], v[22:23], v[103:104], v[20:21]
	s_clause 0x1
	global_load_b128 v[103:106], v85, s[2:3] offset:32
	global_load_b128 v[84:87], v85, s[2:3] offset:48
	s_waitcnt vmcnt(1)
	v_mul_f64 v[20:21], v[18:19], v[105:106]
	scratch_store_b128 off, v[103:106], off offset:492 ; 16-byte Folded Spill
	s_waitcnt vmcnt(0)
	scratch_store_b128 off, v[84:87], off offset:540 ; 16-byte Folded Spill
	v_fma_f64 v[30:31], v[16:17], v[103:104], -v[20:21]
	v_mul_f64 v[16:17], v[16:17], v[105:106]
	s_delay_alu instid0(VALU_DEP_1) | instskip(SKIP_1) | instid1(VALU_DEP_1)
	v_fma_f64 v[28:29], v[18:19], v[103:104], v[16:17]
	v_mul_f64 v[16:17], v[14:15], v[86:87]
	v_fma_f64 v[58:59], v[12:13], v[84:85], -v[16:17]
	v_mul_f64 v[12:13], v[12:13], v[86:87]
	v_add_co_u32 v86, null, 0xb6, v101
	s_delay_alu instid0(VALU_DEP_1) | instskip(NEXT) | instid1(VALU_DEP_4)
	v_and_b32_e32 v87, 0xffff, v86
	v_add_f64 v[117:118], v[30:31], v[58:59]
	s_delay_alu instid0(VALU_DEP_4) | instskip(NEXT) | instid1(VALU_DEP_3)
	v_fma_f64 v[52:53], v[14:15], v[84:85], v[12:13]
	v_mul_u32_u24_e32 v12, 0x4ec5, v87
	s_delay_alu instid0(VALU_DEP_1) | instskip(NEXT) | instid1(VALU_DEP_1)
	v_lshrrev_b32_e32 v12, 18, v12
	v_mul_lo_u16 v12, v12, 13
	s_delay_alu instid0(VALU_DEP_1) | instskip(NEXT) | instid1(VALU_DEP_1)
	v_sub_nc_u16 v98, v86, v12
	v_mul_lo_u16 v12, v98, 6
	s_delay_alu instid0(VALU_DEP_1) | instskip(NEXT) | instid1(VALU_DEP_1)
	v_and_b32_e32 v12, 0xffff, v12
	v_lshlrev_b32_e32 v84, 4, v12
	s_clause 0x1
	global_load_b128 v[16:19], v84, s[2:3]
	global_load_b128 v[20:23], v84, s[2:3] offset:16
	v_add_f64 v[119:120], v[117:118], v[119:120]
	s_delay_alu instid0(VALU_DEP_1)
	v_add_f64 v[4:5], v[4:5], v[119:120]
	s_waitcnt vmcnt(1)
	v_mul_f64 v[12:13], v[26:27], v[18:19]
	scratch_store_b128 off, v[16:19], off offset:692 ; 16-byte Folded Spill
	s_waitcnt vmcnt(0)
	scratch_store_b128 off, v[20:23], off offset:708 ; 16-byte Folded Spill
	v_fma_f64 v[14:15], v[24:25], v[16:17], -v[12:13]
	v_mul_f64 v[12:13], v[24:25], v[18:19]
	s_delay_alu instid0(VALU_DEP_1) | instskip(SKIP_1) | instid1(VALU_DEP_1)
	v_fma_f64 v[12:13], v[26:27], v[16:17], v[12:13]
	v_mul_f64 v[16:17], v[34:35], v[22:23]
	v_fma_f64 v[18:19], v[32:33], v[20:21], -v[16:17]
	v_mul_f64 v[16:17], v[32:33], v[22:23]
	s_delay_alu instid0(VALU_DEP_1)
	v_fma_f64 v[16:17], v[34:35], v[20:21], v[16:17]
	s_clause 0x1
	global_load_b128 v[24:27], v84, s[2:3] offset:80
	global_load_b128 v[32:35], v84, s[2:3] offset:64
	s_waitcnt vmcnt(1)
	scratch_store_b128 off, v[24:27], off offset:724 ; 16-byte Folded Spill
	s_waitcnt vmcnt(0)
	scratch_store_b128 off, v[32:35], off offset:740 ; 16-byte Folded Spill
	s_clause 0x1
	global_load_b128 v[103:106], v84, s[2:3] offset:32
	global_load_b128 v[107:110], v84, s[2:3] offset:48
	v_mul_f64 v[20:21], v[130:131], v[26:27]
	v_add_f64 v[84:85], v[70:71], v[82:83]
	v_add_f64 v[82:83], v[82:83], -v[70:71]
	s_delay_alu instid0(VALU_DEP_3) | instskip(SKIP_1) | instid1(VALU_DEP_1)
	v_fma_f64 v[22:23], v[128:129], v[24:25], -v[20:21]
	v_mul_f64 v[20:21], v[128:129], v[26:27]
	v_fma_f64 v[20:21], v[130:131], v[24:25], v[20:21]
	v_mul_f64 v[24:25], v[126:127], v[34:35]
	s_delay_alu instid0(VALU_DEP_4) | instskip(SKIP_1) | instid1(VALU_DEP_4)
	v_add_f64 v[129:130], v[14:15], v[22:23]
	v_add_f64 v[14:15], v[14:15], -v[22:23]
	v_add_f64 v[137:138], v[12:13], v[20:21]
	s_delay_alu instid0(VALU_DEP_4) | instskip(SKIP_3) | instid1(VALU_DEP_4)
	v_fma_f64 v[26:27], v[124:125], v[32:33], -v[24:25]
	v_mul_f64 v[24:25], v[124:125], v[34:35]
	v_add_f64 v[123:124], v[60:61], v[50:51]
	v_add_f64 v[12:13], v[12:13], -v[20:21]
	v_add_f64 v[131:132], v[18:19], v[26:27]
	s_delay_alu instid0(VALU_DEP_4)
	v_fma_f64 v[24:25], v[126:127], v[32:33], v[24:25]
	v_add_f64 v[125:126], v[28:29], v[52:53]
	v_add_f64 v[127:128], v[123:124], v[121:122]
	v_add_f64 v[52:53], v[52:53], -v[28:29]
	v_add_f64 v[18:19], v[18:19], -v[26:27]
	v_add_f64 v[135:136], v[131:132], v[129:130]
	v_add_f64 v[139:140], v[16:17], v[24:25]
	v_add_f64 v[64:65], v[125:126], -v[123:124]
	v_add_f64 v[127:128], v[125:126], v[127:128]
	v_add_f64 v[16:17], v[16:17], -v[24:25]
	v_add_f64 v[20:21], v[131:132], -v[129:130]
	v_add_f64 v[143:144], v[139:140], v[137:138]
	s_delay_alu instid0(VALU_DEP_4)
	v_add_f64 v[6:7], v[6:7], v[127:128]
	s_waitcnt vmcnt(1)
	v_mul_f64 v[32:33], v[38:39], v[105:106]
	scratch_store_b128 off, v[103:106], off offset:756 ; 16-byte Folded Spill
	s_waitcnt vmcnt(0)
	scratch_store_b128 off, v[107:110], off offset:772 ; 16-byte Folded Spill
	s_waitcnt_vscnt null, 0x0
	s_barrier
	buffer_gl0_inv
	v_fma_f64 v[34:35], v[36:37], v[103:104], -v[32:33]
	v_mul_f64 v[32:33], v[36:37], v[105:106]
	v_mul_f64 v[36:37], v[42:43], v[109:110]
	v_add_f64 v[105:106], v[94:95], v[72:73]
	s_delay_alu instid0(VALU_DEP_3) | instskip(NEXT) | instid1(VALU_DEP_3)
	v_fma_f64 v[32:33], v[38:39], v[103:104], v[32:33]
	v_fma_f64 v[38:39], v[40:41], v[107:108], -v[36:37]
	v_mul_f64 v[36:37], v[40:41], v[109:110]
	v_add_f64 v[40:41], v[92:93], v[78:79]
	v_add_f64 v[109:110], v[54:55], v[80:81]
	v_add_f64 v[54:55], v[80:81], -v[54:55]
	v_add_f64 v[133:134], v[34:35], v[38:39]
	v_fma_f64 v[36:37], v[42:43], v[107:108], v[36:37]
	v_add_f64 v[42:43], v[96:97], v[74:75]
	v_add_f64 v[107:108], v[76:77], v[68:69]
	v_add_f64 v[74:75], v[96:97], -v[74:75]
	v_add_f64 v[68:69], v[76:77], -v[68:69]
	;; [unrolled: 1-line block ×5, first 2 shown]
	v_add_f64 v[135:136], v[133:134], v[135:136]
	v_add_f64 v[22:23], v[36:37], -v[32:33]
	v_add_f64 v[103:104], v[42:43], v[40:41]
	v_add_f64 v[111:112], v[107:108], v[105:106]
	v_add_f64 v[72:73], v[82:83], -v[74:75]
	v_add_f64 v[80:81], v[42:43], -v[40:41]
	;; [unrolled: 1-line block ×5, first 2 shown]
	v_add_f64 v[70:71], v[82:83], v[74:75]
	v_add_f64 v[96:97], v[74:75], -v[76:77]
	v_add_f64 v[107:108], v[54:55], v[68:69]
	v_add_f64 v[145:146], v[68:69], -v[78:79]
	v_add_f64 v[40:41], v[40:41], -v[84:85]
	;; [unrolled: 1-line block ×5, first 2 shown]
	v_add_f64 v[141:142], v[32:33], v[36:37]
	v_add_f64 v[24:25], v[133:134], -v[131:132]
	v_add_f64 v[38:39], v[26:27], -v[18:19]
	;; [unrolled: 1-line block ×3, first 2 shown]
	v_add_f64 v[36:37], v[26:27], v[18:19]
	v_add_f64 v[18:19], v[18:19], -v[14:15]
	v_add_f64 v[0:1], v[0:1], v[135:136]
	v_add_f64 v[103:104], v[84:85], v[103:104]
	;; [unrolled: 1-line block ×3, first 2 shown]
	v_mul_f64 v[147:148], v[72:73], s[20:21]
	v_add_f64 v[84:85], v[105:106], -v[109:110]
	v_mul_f64 v[68:69], v[92:93], s[8:9]
	v_fma_f64 v[109:110], v[119:120], s[16:17], v[4:5]
	v_add_f64 v[151:152], v[70:71], v[76:77]
	v_mul_f64 v[70:71], v[94:95], s[8:9]
	v_add_f64 v[107:108], v[107:108], v[78:79]
	v_mul_f64 v[76:77], v[96:97], s[14:15]
	v_mul_f64 v[78:79], v[145:146], s[14:15]
	;; [unrolled: 1-line block ×3, first 2 shown]
	v_add_f64 v[143:144], v[141:142], v[143:144]
	v_add_f64 v[34:35], v[141:142], -v[139:140]
	v_mul_f64 v[38:39], v[38:39], s[20:21]
	v_add_f64 v[36:37], v[36:37], v[14:15]
	v_add_f64 v[14:15], v[14:15], -v[26:27]
	v_add_f64 v[8:9], v[8:9], v[103:104]
	v_add_f64 v[10:11], v[10:11], v[111:112]
	v_fma_f64 v[72:73], v[96:97], s[14:15], -v[147:148]
	v_mul_f64 v[96:97], v[40:41], s[24:25]
	v_mul_f64 v[84:85], v[84:85], s[24:25]
	v_fma_f64 v[68:69], v[80:81], s[18:19], -v[68:69]
	v_fma_f64 v[70:71], v[42:43], s[18:19], -v[70:71]
	;; [unrolled: 1-line block ×4, first 2 shown]
	v_fma_f64 v[54:55], v[54:55], s[22:23], v[149:150]
	v_add_f64 v[2:3], v[2:3], v[143:144]
	v_fma_f64 v[103:104], v[103:104], s[16:17], v[8:9]
	v_fma_f64 v[111:112], v[111:112], s[16:17], v[10:11]
	;; [unrolled: 1-line block ×3, first 2 shown]
	v_fma_f64 v[78:79], v[80:81], s[26:27], -v[96:97]
	v_fma_f64 v[42:43], v[42:43], s[26:27], -v[84:85]
	v_fma_f64 v[84:85], v[94:95], s[8:9], v[84:85]
	v_fma_f64 v[72:73], v[145:146], s[14:15], -v[149:150]
	v_fma_f64 v[80:81], v[151:152], s[12:13], v[40:41]
	v_fma_f64 v[76:77], v[107:108], s[12:13], v[76:77]
	;; [unrolled: 1-line block ×3, first 2 shown]
	v_add_f64 v[153:154], v[68:69], v[103:104]
	v_add_f64 v[155:156], v[70:71], v[111:112]
	;; [unrolled: 1-line block ×5, first 2 shown]
	v_fma_f64 v[72:73], v[107:108], s[12:13], v[72:73]
	v_fma_f64 v[111:112], v[127:128], s[16:17], v[6:7]
	v_add_f64 v[70:71], v[74:75], v[155:156]
	v_add_f64 v[74:75], v[155:156], -v[74:75]
	v_add_f64 v[40:41], v[76:77], v[78:79]
	v_add_f64 v[42:43], v[105:106], -v[80:81]
	v_add_f64 v[76:77], v[78:79], -v[76:77]
	v_add_f64 v[78:79], v[80:81], v[105:106]
	v_fma_f64 v[80:81], v[82:83], s[22:23], v[147:148]
	v_fma_f64 v[82:83], v[92:93], s[8:9], v[96:97]
	v_add_f64 v[68:69], v[153:154], -v[72:73]
	v_add_f64 v[72:73], v[72:73], v[153:154]
	s_delay_alu instid0(VALU_DEP_4) | instskip(NEXT) | instid1(VALU_DEP_4)
	v_fma_f64 v[94:95], v[151:152], s[12:13], v[80:81]
	v_add_f64 v[92:93], v[82:83], v[103:104]
	s_delay_alu instid0(VALU_DEP_2) | instskip(NEXT) | instid1(VALU_DEP_2)
	v_add_f64 v[82:83], v[84:85], -v[94:95]
	v_add_f64 v[80:81], v[54:55], v[92:93]
	v_add_f64 v[92:93], v[92:93], -v[54:55]
	v_add_f64 v[54:55], v[58:59], -v[30:31]
	;; [unrolled: 1-line block ×5, first 2 shown]
	v_add_f64 v[94:95], v[94:95], v[84:85]
	v_add_f64 v[58:59], v[115:116], -v[113:114]
	v_add_f64 v[62:63], v[123:124], -v[121:122]
	;; [unrolled: 1-line block ×4, first 2 shown]
	v_add_f64 v[28:29], v[54:55], v[48:49]
	v_add_f64 v[66:67], v[48:49], -v[50:51]
	v_add_f64 v[48:49], v[52:53], -v[30:31]
	v_add_f64 v[84:85], v[52:53], v[30:31]
	v_add_f64 v[96:97], v[30:31], -v[56:57]
	v_mul_f64 v[30:31], v[64:65], s[8:9]
	v_add_f64 v[117:118], v[50:51], -v[54:55]
	v_mul_f64 v[105:106], v[46:47], s[20:21]
	v_add_f64 v[103:104], v[28:29], v[50:51]
	v_mul_f64 v[28:29], v[60:61], s[8:9]
	v_mul_f64 v[107:108], v[48:49], s[20:21]
	v_add_f64 v[84:85], v[84:85], v[56:57]
	v_mul_f64 v[50:51], v[66:67], s[14:15]
	v_fma_f64 v[30:31], v[62:63], s[18:19], -v[30:31]
	v_fma_f64 v[46:47], v[66:67], s[14:15], -v[105:106]
	v_mul_f64 v[66:67], v[113:114], s[24:25]
	v_fma_f64 v[28:29], v[58:59], s[18:19], -v[28:29]
	v_fma_f64 v[50:51], v[117:118], s[28:29], -v[50:51]
	v_add_f64 v[119:120], v[30:31], v[111:112]
	v_fma_f64 v[48:49], v[103:104], s[12:13], v[46:47]
	v_fma_f64 v[46:47], v[96:97], s[14:15], -v[107:108]
	v_add_f64 v[115:116], v[28:29], v[109:110]
	v_fma_f64 v[54:55], v[58:59], s[26:27], -v[66:67]
	v_fma_f64 v[60:61], v[60:61], s[8:9], v[66:67]
	v_fma_f64 v[58:59], v[103:104], s[12:13], v[50:51]
	v_add_f64 v[30:31], v[48:49], v[119:120]
	v_fma_f64 v[46:47], v[84:85], s[12:13], v[46:47]
	v_add_f64 v[48:49], v[119:120], -v[48:49]
	v_add_f64 v[119:120], v[56:57], -v[52:53]
	v_mul_f64 v[52:53], v[96:97], s[14:15]
	v_add_f64 v[54:55], v[54:55], v[109:110]
	v_add_f64 v[28:29], v[115:116], -v[46:47]
	v_add_f64 v[46:47], v[46:47], v[115:116]
	v_add_f64 v[115:116], v[121:122], -v[125:126]
	v_fma_f64 v[52:53], v[119:120], s[28:29], -v[52:53]
	s_delay_alu instid0(VALU_DEP_2) | instskip(NEXT) | instid1(VALU_DEP_1)
	v_mul_f64 v[96:97], v[115:116], s[24:25]
	v_fma_f64 v[56:57], v[62:63], s[26:27], -v[96:97]
	s_delay_alu instid0(VALU_DEP_3) | instskip(SKIP_2) | instid1(VALU_DEP_4)
	v_fma_f64 v[62:63], v[84:85], s[12:13], v[52:53]
	v_fma_f64 v[64:65], v[64:65], s[8:9], v[96:97]
	v_mul_f64 v[96:97], v[24:25], s[8:9]
	v_add_f64 v[56:57], v[56:57], v[111:112]
	s_delay_alu instid0(VALU_DEP_4)
	v_add_f64 v[50:51], v[62:63], v[54:55]
	v_add_f64 v[54:55], v[54:55], -v[62:63]
	v_fma_f64 v[62:63], v[119:120], s[22:23], v[107:108]
	v_add_f64 v[64:65], v[64:65], v[111:112]
	v_fma_f64 v[96:97], v[20:21], s[18:19], -v[96:97]
	v_fma_f64 v[107:108], v[143:144], s[16:17], v[2:3]
	v_add_f64 v[52:53], v[56:57], -v[58:59]
	v_add_f64 v[56:57], v[58:59], v[56:57]
	v_fma_f64 v[58:59], v[117:118], s[22:23], v[105:106]
	v_fma_f64 v[62:63], v[84:85], s[12:13], v[62:63]
	v_add_f64 v[84:85], v[60:61], v[109:110]
	v_fma_f64 v[105:106], v[135:136], s[16:17], v[0:1]
	v_fma_f64 v[109:110], v[18:19], s[14:15], -v[38:39]
	v_mul_f64 v[18:19], v[18:19], s[14:15]
	v_fma_f64 v[66:67], v[103:104], s[12:13], v[58:59]
	v_mul_f64 v[103:104], v[34:35], s[8:9]
	v_add_f64 v[58:59], v[62:63], v[84:85]
	v_add_f64 v[62:63], v[84:85], -v[62:63]
	v_add_f64 v[84:85], v[22:23], -v[16:17]
	v_add_f64 v[96:97], v[96:97], v[105:106]
	v_fma_f64 v[109:110], v[36:37], s[12:13], v[109:110]
	v_fma_f64 v[18:19], v[14:15], s[28:29], -v[18:19]
	v_fma_f64 v[14:15], v[14:15], s[22:23], v[38:39]
	v_add_f64 v[60:61], v[64:65], -v[66:67]
	v_add_f64 v[64:65], v[66:67], v[64:65]
	v_add_f64 v[66:67], v[22:23], v[16:17]
	v_add_f64 v[16:17], v[16:17], -v[12:13]
	v_mul_f64 v[84:85], v[84:85], s[20:21]
	v_fma_f64 v[103:104], v[32:33], s[18:19], -v[103:104]
	v_fma_f64 v[18:19], v[36:37], s[12:13], v[18:19]
	v_fma_f64 v[14:15], v[36:37], s[12:13], v[14:15]
	v_add_f64 v[66:67], v[66:67], v[12:13]
	v_add_f64 v[12:13], v[12:13], -v[22:23]
	v_fma_f64 v[111:112], v[16:17], s[14:15], -v[84:85]
	v_add_f64 v[103:104], v[103:104], v[107:108]
	v_mul_f64 v[16:17], v[16:17], s[14:15]
	s_delay_alu instid0(VALU_DEP_3) | instskip(NEXT) | instid1(VALU_DEP_3)
	v_fma_f64 v[111:112], v[66:67], s[12:13], v[111:112]
	v_add_f64 v[155:156], v[109:110], v[103:104]
	v_add_f64 v[164:165], v[103:104], -v[109:110]
	v_add_f64 v[103:104], v[137:138], -v[141:142]
	v_fma_f64 v[16:17], v[12:13], s[28:29], -v[16:17]
	v_fma_f64 v[12:13], v[12:13], s[22:23], v[84:85]
	v_add_f64 v[153:154], v[96:97], -v[111:112]
	v_add_f64 v[162:163], v[111:112], v[96:97]
	v_add_f64 v[96:97], v[129:130], -v[133:134]
	v_mul_f64 v[26:27], v[103:104], s[24:25]
	v_fma_f64 v[16:17], v[66:67], s[12:13], v[16:17]
	v_fma_f64 v[12:13], v[66:67], s[12:13], v[12:13]
	s_delay_alu instid0(VALU_DEP_4) | instskip(NEXT) | instid1(VALU_DEP_4)
	v_mul_f64 v[22:23], v[96:97], s[24:25]
	v_fma_f64 v[32:33], v[32:33], s[26:27], -v[26:27]
	s_delay_alu instid0(VALU_DEP_2) | instskip(NEXT) | instid1(VALU_DEP_2)
	v_fma_f64 v[20:21], v[20:21], s[26:27], -v[22:23]
	v_add_f64 v[32:33], v[32:33], v[107:108]
	s_delay_alu instid0(VALU_DEP_2) | instskip(NEXT) | instid1(VALU_DEP_2)
	v_add_f64 v[20:21], v[20:21], v[105:106]
	v_add_f64 v[168:169], v[32:33], -v[18:19]
	v_add_f64 v[172:173], v[18:19], v[32:33]
	v_fma_f64 v[18:19], v[34:35], s[8:9], v[26:27]
	s_delay_alu instid0(VALU_DEP_4) | instskip(SKIP_2) | instid1(VALU_DEP_4)
	v_add_f64 v[166:167], v[16:17], v[20:21]
	v_add_f64 v[170:171], v[20:21], -v[16:17]
	v_fma_f64 v[16:17], v[24:25], s[8:9], v[22:23]
	v_add_f64 v[18:19], v[18:19], v[107:108]
	s_delay_alu instid0(VALU_DEP_2) | instskip(NEXT) | instid1(VALU_DEP_2)
	v_add_f64 v[16:17], v[16:17], v[105:106]
	v_add_f64 v[176:177], v[18:19], -v[14:15]
	v_add_f64 v[160:161], v[14:15], v[18:19]
	s_delay_alu instid0(VALU_DEP_3) | instskip(SKIP_2) | instid1(VALU_DEP_1)
	v_add_f64 v[174:175], v[12:13], v[16:17]
	v_add_f64 v[158:159], v[16:17], -v[12:13]
	v_and_b32_e32 v12, 0xffff, v88
	v_mul_u32_u24_e32 v12, 0x5b, v12
	s_delay_alu instid0(VALU_DEP_1) | instskip(NEXT) | instid1(VALU_DEP_1)
	v_add_nc_u32_e32 v12, v12, v89
	v_lshl_add_u32 v12, v12, 4, v201
	ds_store_b128 v12, v[8:11]
	ds_store_b128 v12, v[80:83] offset:208
	ds_store_b128 v12, v[40:43] offset:416
	;; [unrolled: 1-line block ×5, first 2 shown]
	v_and_b32_e32 v8, 0xffff, v90
	scratch_store_b32 off, v12, off offset:688 ; 4-byte Folded Spill
	ds_store_b128 v12, v[92:95] offset:1248
	v_mul_u32_u24_e32 v8, 0x5b, v8
	s_delay_alu instid0(VALU_DEP_1) | instskip(NEXT) | instid1(VALU_DEP_1)
	v_add_nc_u32_e32 v8, v8, v91
	v_lshl_add_u32 v8, v8, 4, v201
	ds_store_b128 v8, v[4:7]
	ds_store_b128 v8, v[58:61] offset:208
	ds_store_b128 v8, v[50:53] offset:416
	;; [unrolled: 1-line block ×5, first 2 shown]
	v_and_b32_e32 v4, 0xffff, v98
	scratch_store_b32 off, v8, off offset:556 ; 4-byte Folded Spill
	ds_store_b128 v8, v[62:65] offset:1248
	scratch_store_b32 off, v4, off offset:376 ; 4-byte Folded Spill
	s_and_saveexec_b32 s1, s0
	s_cbranch_execz .LBB0_11
; %bb.10:
	scratch_load_b32 v4, off, off offset:376 ; 4-byte Folded Reload
	s_waitcnt vmcnt(0)
	v_lshl_add_u32 v4, v4, 4, v201
	ds_store_b128 v4, v[0:3] offset:20384
	ds_store_b128 v4, v[174:177] offset:20592
	;; [unrolled: 1-line block ×7, first 2 shown]
.LBB0_11:
	s_or_b32 exec_lo, exec_lo, s1
	v_lshlrev_b32_e32 v8, 6, v101
	s_waitcnt lgkmcnt(0)
	s_waitcnt_vscnt null, 0x0
	s_barrier
	buffer_gl0_inv
	s_mov_b32 s14, 0x134454ff
	s_clause 0x3
	global_load_b128 v[64:67], v8, s[2:3] offset:1248
	global_load_b128 v[60:63], v8, s[2:3] offset:1264
	;; [unrolled: 1-line block ×4, first 2 shown]
	ds_load_b128 v[4:7], v182 offset:4368
	ds_load_b128 v[0:3], v182 offset:8736
	;; [unrolled: 1-line block ×7, first 2 shown]
	s_mov_b32 s15, 0x3fee6f0e
	s_mov_b32 s17, 0xbfee6f0e
	;; [unrolled: 1-line block ×9, first 2 shown]
	v_lshl_add_u32 v183, v101, 4, v201
	s_waitcnt vmcnt(3) lgkmcnt(6)
	v_mul_f64 v[29:30], v[6:7], v[66:67]
	s_waitcnt vmcnt(2) lgkmcnt(5)
	v_mul_f64 v[33:34], v[2:3], v[62:63]
	v_mul_f64 v[35:36], v[0:1], v[62:63]
	s_waitcnt vmcnt(1) lgkmcnt(2)
	v_mul_f64 v[37:38], v[19:20], v[58:59]
	;; [unrolled: 3-line block ×3, first 2 shown]
	v_mul_f64 v[46:47], v[21:22], v[54:55]
	v_mul_f64 v[31:32], v[4:5], v[66:67]
	v_fma_f64 v[29:30], v[4:5], v[64:65], -v[29:30]
	v_fma_f64 v[33:34], v[0:1], v[60:61], -v[33:34]
	v_fma_f64 v[35:36], v[2:3], v[60:61], v[35:36]
	ds_load_b128 v[0:3], v182 offset:5824
	v_fma_f64 v[37:38], v[17:18], v[56:57], -v[37:38]
	v_fma_f64 v[39:40], v[19:20], v[56:57], v[39:40]
	ds_load_b128 v[17:20], v182 offset:7280
	v_fma_f64 v[21:22], v[21:22], v[52:53], -v[41:42]
	v_fma_f64 v[23:24], v[23:24], v[52:53], v[46:47]
	v_fma_f64 v[31:32], v[6:7], v[64:65], v[31:32]
	ds_load_b128 v[4:7], v182 offset:18928
	s_waitcnt lgkmcnt(2)
	v_mul_f64 v[41:42], v[2:3], v[66:67]
	v_add_f64 v[103:104], v[33:34], -v[37:38]
	v_add_f64 v[95:96], v[35:36], -v[39:40]
	;; [unrolled: 1-line block ×4, first 2 shown]
	v_fma_f64 v[41:42], v[0:1], v[64:65], -v[41:42]
	v_mul_f64 v[0:1], v[0:1], v[66:67]
	s_delay_alu instid0(VALU_DEP_1) | instskip(SKIP_1) | instid1(VALU_DEP_1)
	v_fma_f64 v[46:47], v[2:3], v[64:65], v[0:1]
	v_mul_f64 v[0:1], v[15:16], v[62:63]
	v_fma_f64 v[48:49], v[13:14], v[60:61], -v[0:1]
	v_mul_f64 v[0:1], v[13:14], v[62:63]
	s_delay_alu instid0(VALU_DEP_1) | instskip(SKIP_4) | instid1(VALU_DEP_1)
	v_fma_f64 v[50:51], v[15:16], v[60:61], v[0:1]
	ds_load_b128 v[0:3], v182 offset:14560
	ds_load_b128 v[13:16], v182 offset:16016
	s_waitcnt lgkmcnt(1)
	v_mul_f64 v[68:69], v[2:3], v[58:59]
	v_fma_f64 v[68:69], v[0:1], v[56:57], -v[68:69]
	v_mul_f64 v[0:1], v[0:1], v[58:59]
	s_delay_alu instid0(VALU_DEP_1) | instskip(SKIP_1) | instid1(VALU_DEP_1)
	v_fma_f64 v[70:71], v[2:3], v[56:57], v[0:1]
	v_mul_f64 v[0:1], v[6:7], v[54:55]
	v_fma_f64 v[72:73], v[4:5], v[52:53], -v[0:1]
	v_mul_f64 v[0:1], v[4:5], v[54:55]
	s_delay_alu instid0(VALU_DEP_1) | instskip(SKIP_1) | instid1(VALU_DEP_1)
	v_fma_f64 v[74:75], v[6:7], v[52:53], v[0:1]
	v_mul_u32_u24_e32 v0, 0x6817, v87
	v_lshrrev_b32_e32 v0, 16, v0
	s_delay_alu instid0(VALU_DEP_1) | instskip(NEXT) | instid1(VALU_DEP_1)
	v_sub_nc_u16 v1, v86, v0
	v_lshrrev_b16 v1, 1, v1
	s_delay_alu instid0(VALU_DEP_1) | instskip(NEXT) | instid1(VALU_DEP_1)
	v_add_nc_u16 v0, v1, v0
	v_lshrrev_b16 v0, 6, v0
	s_delay_alu instid0(VALU_DEP_1) | instskip(NEXT) | instid1(VALU_DEP_1)
	v_mul_lo_u16 v0, 0x5b, v0
	v_sub_nc_u16 v43, v86, v0
	s_delay_alu instid0(VALU_DEP_1) | instskip(NEXT) | instid1(VALU_DEP_1)
	v_lshlrev_b16 v0, 6, v43
	v_and_b32_e32 v0, 0xffff, v0
	s_delay_alu instid0(VALU_DEP_1) | instskip(NEXT) | instid1(VALU_DEP_1)
	v_add_co_u32 v0, s1, s2, v0
	v_add_co_ci_u32_e64 v1, null, s3, 0, s1
	s_clause 0x1
	global_load_b128 v[78:81], v[0:1], off offset:1248
	global_load_b128 v[4:7], v[0:1], off offset:1264
	s_waitcnt vmcnt(1)
	v_mul_f64 v[2:3], v[19:20], v[80:81]
	scratch_store_b128 off, v[78:81], off offset:328 ; 16-byte Folded Spill
	s_waitcnt vmcnt(0)
	scratch_store_b128 off, v[4:7], off offset:296 ; 16-byte Folded Spill
	v_fma_f64 v[76:77], v[17:18], v[78:79], -v[2:3]
	v_mul_f64 v[2:3], v[17:18], v[80:81]
	s_delay_alu instid0(VALU_DEP_1) | instskip(SKIP_1) | instid1(VALU_DEP_1)
	v_fma_f64 v[78:79], v[19:20], v[78:79], v[2:3]
	v_mul_f64 v[2:3], v[27:28], v[6:7]
	v_fma_f64 v[80:81], v[25:26], v[4:5], -v[2:3]
	v_mul_f64 v[2:3], v[25:26], v[6:7]
	s_delay_alu instid0(VALU_DEP_1)
	v_fma_f64 v[82:83], v[27:28], v[4:5], v[2:3]
	s_clause 0x1
	global_load_b128 v[2:5], v[0:1], off offset:1280
	global_load_b128 v[17:20], v[0:1], off offset:1296
	s_waitcnt vmcnt(1) lgkmcnt(0)
	v_mul_f64 v[0:1], v[15:16], v[4:5]
	scratch_store_b128 off, v[2:5], off offset:344 ; 16-byte Folded Spill
	s_waitcnt vmcnt(0)
	scratch_store_b128 off, v[17:20], off offset:312 ; 16-byte Folded Spill
	v_fma_f64 v[84:85], v[13:14], v[2:3], -v[0:1]
	v_mul_f64 v[0:1], v[13:14], v[4:5]
	v_add_f64 v[13:14], v[33:34], v[37:38]
	s_delay_alu instid0(VALU_DEP_2) | instskip(SKIP_3) | instid1(VALU_DEP_1)
	v_fma_f64 v[87:88], v[15:16], v[2:3], v[0:1]
	ds_load_b128 v[0:3], v182 offset:20384
	s_waitcnt lgkmcnt(0)
	v_mul_f64 v[4:5], v[2:3], v[19:20]
	v_fma_f64 v[89:90], v[0:1], v[17:18], -v[4:5]
	v_mul_f64 v[0:1], v[0:1], v[19:20]
	s_delay_alu instid0(VALU_DEP_1) | instskip(SKIP_2) | instid1(VALU_DEP_1)
	v_fma_f64 v[91:92], v[2:3], v[17:18], v[0:1]
	v_add_f64 v[0:1], v[29:30], -v[33:34]
	v_add_f64 v[2:3], v[21:22], -v[37:38]
	v_add_f64 v[17:18], v[0:1], v[2:3]
	v_add_f64 v[0:1], v[31:32], -v[35:36]
	v_add_f64 v[2:3], v[23:24], -v[39:40]
	s_delay_alu instid0(VALU_DEP_1)
	v_add_f64 v[19:20], v[0:1], v[2:3]
	ds_load_b128 v[0:3], v182
	ds_load_b128 v[4:7], v182 offset:1456
	s_waitcnt lgkmcnt(0)
	s_waitcnt_vscnt null, 0x0
	s_barrier
	buffer_gl0_inv
	v_fma_f64 v[25:26], v[13:14], -0.5, v[0:1]
	v_add_f64 v[13:14], v[35:36], v[39:40]
	s_delay_alu instid0(VALU_DEP_1) | instskip(NEXT) | instid1(VALU_DEP_3)
	v_fma_f64 v[27:28], v[13:14], -0.5, v[2:3]
	v_fma_f64 v[13:14], v[93:94], s[14:15], v[25:26]
	v_fma_f64 v[25:26], v[93:94], s[16:17], v[25:26]
	s_delay_alu instid0(VALU_DEP_3) | instskip(SKIP_1) | instid1(VALU_DEP_4)
	v_fma_f64 v[15:16], v[97:98], s[16:17], v[27:28]
	v_fma_f64 v[27:28], v[97:98], s[14:15], v[27:28]
	;; [unrolled: 1-line block ×3, first 2 shown]
	s_delay_alu instid0(VALU_DEP_4) | instskip(NEXT) | instid1(VALU_DEP_4)
	v_fma_f64 v[25:26], v[95:96], s[12:13], v[25:26]
	v_fma_f64 v[15:16], v[103:104], s[12:13], v[15:16]
	s_delay_alu instid0(VALU_DEP_4) | instskip(NEXT) | instid1(VALU_DEP_4)
	v_fma_f64 v[27:28], v[103:104], s[8:9], v[27:28]
	v_fma_f64 v[13:14], v[17:18], s[18:19], v[13:14]
	s_delay_alu instid0(VALU_DEP_4) | instskip(SKIP_4) | instid1(VALU_DEP_4)
	v_fma_f64 v[17:18], v[17:18], s[18:19], v[25:26]
	v_add_f64 v[25:26], v[29:30], v[21:22]
	v_fma_f64 v[15:16], v[19:20], s[18:19], v[15:16]
	v_fma_f64 v[19:20], v[19:20], s[18:19], v[27:28]
	v_add_f64 v[27:28], v[31:32], v[23:24]
	v_fma_f64 v[25:26], v[25:26], -0.5, v[0:1]
	v_add_f64 v[0:1], v[0:1], v[29:30]
	v_add_f64 v[29:30], v[33:34], -v[29:30]
	s_delay_alu instid0(VALU_DEP_4) | instskip(SKIP_4) | instid1(VALU_DEP_4)
	v_fma_f64 v[27:28], v[27:28], -0.5, v[2:3]
	v_add_f64 v[2:3], v[2:3], v[31:32]
	v_add_f64 v[31:32], v[35:36], -v[31:32]
	v_add_f64 v[0:1], v[0:1], v[33:34]
	v_add_f64 v[33:34], v[37:38], -v[21:22]
	v_add_f64 v[2:3], v[2:3], v[35:36]
	v_fma_f64 v[35:36], v[103:104], s[14:15], v[27:28]
	s_delay_alu instid0(VALU_DEP_4)
	v_add_f64 v[0:1], v[0:1], v[37:38]
	v_fma_f64 v[27:28], v[103:104], s[16:17], v[27:28]
	v_add_f64 v[29:30], v[29:30], v[33:34]
	v_add_f64 v[103:104], v[48:49], -v[68:69]
	v_add_f64 v[2:3], v[2:3], v[39:40]
	v_add_f64 v[0:1], v[0:1], v[21:22]
	v_add_f64 v[21:22], v[39:40], -v[23:24]
	v_fma_f64 v[27:28], v[97:98], s[8:9], v[27:28]
	s_delay_alu instid0(VALU_DEP_4) | instskip(SKIP_4) | instid1(VALU_DEP_4)
	v_add_f64 v[2:3], v[2:3], v[23:24]
	v_fma_f64 v[23:24], v[95:96], s[16:17], v[25:26]
	v_fma_f64 v[25:26], v[95:96], s[14:15], v[25:26]
	v_add_f64 v[31:32], v[31:32], v[21:22]
	v_add_f64 v[95:96], v[50:51], -v[70:71]
	v_fma_f64 v[21:22], v[93:94], s[8:9], v[23:24]
	s_delay_alu instid0(VALU_DEP_4)
	v_fma_f64 v[25:26], v[93:94], s[12:13], v[25:26]
	v_fma_f64 v[23:24], v[97:98], s[12:13], v[35:36]
	;; [unrolled: 1-line block ×3, first 2 shown]
	v_add_f64 v[93:94], v[46:47], -v[74:75]
	v_add_f64 v[97:98], v[41:42], -v[72:73]
	v_fma_f64 v[21:22], v[29:30], s[18:19], v[21:22]
	v_fma_f64 v[25:26], v[29:30], s[18:19], v[25:26]
	;; [unrolled: 1-line block ×3, first 2 shown]
	v_add_f64 v[29:30], v[41:42], -v[48:49]
	v_add_f64 v[31:32], v[72:73], -v[68:69]
	s_delay_alu instid0(VALU_DEP_1) | instskip(SKIP_2) | instid1(VALU_DEP_1)
	v_add_f64 v[33:34], v[29:30], v[31:32]
	v_add_f64 v[29:30], v[46:47], -v[50:51]
	v_add_f64 v[31:32], v[74:75], -v[70:71]
	v_add_f64 v[35:36], v[29:30], v[31:32]
	v_add_f64 v[29:30], v[48:49], v[68:69]
	s_delay_alu instid0(VALU_DEP_1) | instskip(SKIP_1) | instid1(VALU_DEP_1)
	v_fma_f64 v[37:38], v[29:30], -0.5, v[4:5]
	v_add_f64 v[29:30], v[50:51], v[70:71]
	v_fma_f64 v[39:40], v[29:30], -0.5, v[6:7]
	s_delay_alu instid0(VALU_DEP_3) | instskip(SKIP_1) | instid1(VALU_DEP_3)
	v_fma_f64 v[29:30], v[93:94], s[14:15], v[37:38]
	v_fma_f64 v[37:38], v[93:94], s[16:17], v[37:38]
	;; [unrolled: 1-line block ×3, first 2 shown]
	s_delay_alu instid0(VALU_DEP_3) | instskip(SKIP_1) | instid1(VALU_DEP_4)
	v_fma_f64 v[29:30], v[95:96], s[8:9], v[29:30]
	v_fma_f64 v[39:40], v[97:98], s[14:15], v[39:40]
	;; [unrolled: 1-line block ×3, first 2 shown]
	s_delay_alu instid0(VALU_DEP_4) | instskip(NEXT) | instid1(VALU_DEP_4)
	v_fma_f64 v[31:32], v[103:104], s[12:13], v[31:32]
	v_fma_f64 v[29:30], v[33:34], s[18:19], v[29:30]
	s_delay_alu instid0(VALU_DEP_4) | instskip(NEXT) | instid1(VALU_DEP_4)
	v_fma_f64 v[39:40], v[103:104], s[8:9], v[39:40]
	v_fma_f64 v[33:34], v[33:34], s[18:19], v[37:38]
	v_add_f64 v[37:38], v[41:42], v[72:73]
	v_fma_f64 v[31:32], v[35:36], s[18:19], v[31:32]
	s_delay_alu instid0(VALU_DEP_4) | instskip(SKIP_1) | instid1(VALU_DEP_4)
	v_fma_f64 v[35:36], v[35:36], s[18:19], v[39:40]
	v_add_f64 v[39:40], v[46:47], v[74:75]
	v_fma_f64 v[37:38], v[37:38], -0.5, v[4:5]
	v_add_f64 v[4:5], v[4:5], v[41:42]
	v_add_f64 v[41:42], v[48:49], -v[41:42]
	s_delay_alu instid0(VALU_DEP_4) | instskip(SKIP_1) | instid1(VALU_DEP_4)
	v_fma_f64 v[39:40], v[39:40], -0.5, v[6:7]
	v_add_f64 v[6:7], v[6:7], v[46:47]
	v_add_f64 v[4:5], v[4:5], v[48:49]
	v_add_f64 v[46:47], v[50:51], -v[46:47]
	v_add_f64 v[48:49], v[68:69], -v[72:73]
	s_delay_alu instid0(VALU_DEP_4) | instskip(NEXT) | instid1(VALU_DEP_4)
	v_add_f64 v[6:7], v[6:7], v[50:51]
	v_add_f64 v[4:5], v[4:5], v[68:69]
	v_add_f64 v[50:51], v[70:71], -v[74:75]
	v_fma_f64 v[68:69], v[95:96], s[16:17], v[37:38]
	v_fma_f64 v[37:38], v[95:96], s[14:15], v[37:38]
	v_add_f64 v[41:42], v[41:42], v[48:49]
	v_add_f64 v[95:96], v[78:79], -v[91:92]
	v_add_f64 v[6:7], v[6:7], v[70:71]
	v_fma_f64 v[70:71], v[103:104], s[14:15], v[39:40]
	v_add_f64 v[48:49], v[46:47], v[50:51]
	v_fma_f64 v[46:47], v[93:94], s[8:9], v[68:69]
	v_fma_f64 v[50:51], v[93:94], s[12:13], v[37:38]
	;; [unrolled: 1-line block ×3, first 2 shown]
	v_add_f64 v[4:5], v[4:5], v[72:73]
	v_add_f64 v[93:94], v[82:83], -v[87:88]
	v_add_f64 v[103:104], v[76:77], -v[89:90]
	v_add_f64 v[6:7], v[6:7], v[74:75]
	v_fma_f64 v[68:69], v[97:98], s[12:13], v[70:71]
	v_fma_f64 v[37:38], v[41:42], s[18:19], v[46:47]
	;; [unrolled: 1-line block ×3, first 2 shown]
	v_add_f64 v[41:42], v[80:81], -v[76:77]
	v_add_f64 v[50:51], v[84:85], -v[89:90]
	v_fma_f64 v[70:71], v[97:98], s[8:9], v[39:40]
	v_add_f64 v[97:98], v[80:81], -v[84:85]
	v_fma_f64 v[39:40], v[48:49], s[18:19], v[68:69]
	v_add_f64 v[68:69], v[87:88], -v[91:92]
	v_add_f64 v[41:42], v[41:42], v[50:51]
	v_add_f64 v[50:51], v[82:83], -v[78:79]
	v_fma_f64 v[48:49], v[48:49], s[18:19], v[70:71]
	ds_store_b128 v182, v[0:3]
	ds_store_b128 v182, v[13:16] offset:1456
	ds_store_b128 v182, v[21:24] offset:2912
	;; [unrolled: 1-line block ×8, first 2 shown]
	v_lshlrev_b32_e32 v4, 5, v101
	v_add_co_u32 v0, s1, s2, v8
	s_delay_alu instid0(VALU_DEP_1) | instskip(SKIP_4) | instid1(VALU_DEP_1)
	v_add_co_ci_u32_e64 v1, null, s3, 0, s1
	v_and_b32_e32 v2, 0xffff, v43
	v_add_f64 v[50:51], v[50:51], v[68:69]
	v_add_f64 v[68:69], v[76:77], v[89:90]
	v_sub_co_u32 v3, s1, v0, v4
	v_subrev_co_ci_u32_e64 v5, s1, 0, v1, s1
	v_lshl_add_u32 v157, v2, 4, v201
	s_delay_alu instid0(VALU_DEP_3) | instskip(NEXT) | instid1(VALU_DEP_1)
	v_add_co_u32 v0, s1, 0x1000, v3
	v_add_co_ci_u32_e64 v1, s1, 0, v5, s1
	ds_store_b128 v182, v[33:36] offset:13104
	v_fma_f64 v[72:73], v[68:69], -0.5, v[9:10]
	v_add_f64 v[68:69], v[78:79], v[91:92]
	s_delay_alu instid0(VALU_DEP_1) | instskip(NEXT) | instid1(VALU_DEP_3)
	v_fma_f64 v[74:75], v[68:69], -0.5, v[11:12]
	v_fma_f64 v[68:69], v[93:94], s[16:17], v[72:73]
	v_fma_f64 v[72:73], v[93:94], s[14:15], v[72:73]
	s_delay_alu instid0(VALU_DEP_3) | instskip(SKIP_1) | instid1(VALU_DEP_4)
	v_fma_f64 v[70:71], v[97:98], s[14:15], v[74:75]
	v_fma_f64 v[74:75], v[97:98], s[16:17], v[74:75]
	;; [unrolled: 1-line block ×3, first 2 shown]
	s_delay_alu instid0(VALU_DEP_4) | instskip(NEXT) | instid1(VALU_DEP_4)
	v_fma_f64 v[72:73], v[95:96], s[12:13], v[72:73]
	v_fma_f64 v[70:71], v[103:104], s[12:13], v[70:71]
	s_delay_alu instid0(VALU_DEP_4) | instskip(NEXT) | instid1(VALU_DEP_4)
	v_fma_f64 v[74:75], v[103:104], s[8:9], v[74:75]
	v_fma_f64 v[68:69], v[41:42], s[18:19], v[68:69]
	s_delay_alu instid0(VALU_DEP_4) | instskip(SKIP_4) | instid1(VALU_DEP_4)
	v_fma_f64 v[72:73], v[41:42], s[18:19], v[72:73]
	v_add_f64 v[41:42], v[80:81], v[84:85]
	v_fma_f64 v[70:71], v[50:51], s[18:19], v[70:71]
	v_fma_f64 v[74:75], v[50:51], s[18:19], v[74:75]
	v_add_f64 v[50:51], v[82:83], v[87:88]
	v_fma_f64 v[41:42], v[41:42], -0.5, v[9:10]
	v_add_f64 v[9:10], v[9:10], v[76:77]
	v_add_f64 v[76:77], v[76:77], -v[80:81]
	s_delay_alu instid0(VALU_DEP_4) | instskip(SKIP_4) | instid1(VALU_DEP_4)
	v_fma_f64 v[50:51], v[50:51], -0.5, v[11:12]
	v_add_f64 v[11:12], v[11:12], v[78:79]
	v_add_f64 v[78:79], v[78:79], -v[82:83]
	v_add_f64 v[9:10], v[9:10], v[80:81]
	v_add_f64 v[80:81], v[89:90], -v[84:85]
	;; [unrolled: 2-line block ×3, first 2 shown]
	s_delay_alu instid0(VALU_DEP_4)
	v_add_f64 v[9:10], v[9:10], v[84:85]
	v_fma_f64 v[84:85], v[95:96], s[14:15], v[41:42]
	v_fma_f64 v[41:42], v[95:96], s[16:17], v[41:42]
	v_add_f64 v[80:81], v[76:77], v[80:81]
	v_add_f64 v[11:12], v[11:12], v[87:88]
	v_fma_f64 v[87:88], v[103:104], s[16:17], v[50:51]
	v_fma_f64 v[50:51], v[103:104], s[14:15], v[50:51]
	v_add_f64 v[82:83], v[78:79], v[82:83]
	v_fma_f64 v[76:77], v[93:94], s[8:9], v[84:85]
	v_fma_f64 v[41:42], v[93:94], s[12:13], v[41:42]
	v_add_f64 v[9:10], v[9:10], v[89:90]
	v_add_f64 v[11:12], v[11:12], v[91:92]
	v_fma_f64 v[78:79], v[97:98], s[12:13], v[87:88]
	v_fma_f64 v[50:51], v[97:98], s[8:9], v[50:51]
	s_mov_b32 s9, 0xbfebb67a
	v_fma_f64 v[76:77], v[80:81], s[18:19], v[76:77]
	v_fma_f64 v[80:81], v[80:81], s[18:19], v[41:42]
	s_delay_alu instid0(VALU_DEP_4) | instskip(NEXT) | instid1(VALU_DEP_4)
	v_fma_f64 v[78:79], v[82:83], s[18:19], v[78:79]
	v_fma_f64 v[82:83], v[82:83], s[18:19], v[50:51]
	ds_store_b128 v157, v[9:12] offset:14560
	ds_store_b128 v157, v[76:79] offset:16016
	ds_store_b128 v157, v[68:71] offset:17472
	ds_store_b128 v157, v[72:75] offset:18928
	ds_store_b128 v157, v[80:83] offset:20384
	s_waitcnt lgkmcnt(0)
	s_barrier
	buffer_gl0_inv
	global_load_b128 v[19:22], v[0:1], off offset:2976
	v_add_co_u32 v0, s1, 0x1ba0, v3
	s_delay_alu instid0(VALU_DEP_1)
	v_add_co_ci_u32_e64 v1, s1, 0, v5, s1
	global_load_b128 v[23:26], v[0:1], off offset:16
	ds_load_b128 v[0:3], v182 offset:7280
	ds_load_b128 v[5:8], v182 offset:5824
	ds_load_b128 v[9:12], v182 offset:14560
	s_waitcnt vmcnt(1) lgkmcnt(2)
	v_mul_f64 v[13:14], v[2:3], v[21:22]
	v_mul_f64 v[15:16], v[0:1], v[21:22]
	scratch_store_b128 off, v[19:22], off offset:280 ; 16-byte Folded Spill
	s_waitcnt vmcnt(0)
	scratch_store_b128 off, v[23:26], off offset:264 ; 16-byte Folded Spill
	v_fma_f64 v[17:18], v[0:1], v[19:20], -v[13:14]
	v_fma_f64 v[19:20], v[2:3], v[19:20], v[15:16]
	ds_load_b128 v[0:3], v182 offset:16016
	s_waitcnt lgkmcnt(1)
	v_mul_f64 v[13:14], v[11:12], v[25:26]
	s_delay_alu instid0(VALU_DEP_1) | instskip(SKIP_1) | instid1(VALU_DEP_1)
	v_fma_f64 v[21:22], v[9:10], v[23:24], -v[13:14]
	v_mul_f64 v[9:10], v[9:10], v[25:26]
	v_fma_f64 v[23:24], v[11:12], v[23:24], v[9:10]
	v_lshlrev_b32_e32 v9, 5, v100
	s_delay_alu instid0(VALU_DEP_1) | instskip(NEXT) | instid1(VALU_DEP_1)
	v_add_co_u32 v11, s1, s2, v9
	v_add_co_ci_u32_e64 v12, null, s3, 0, s1
	s_delay_alu instid0(VALU_DEP_2) | instskip(NEXT) | instid1(VALU_DEP_1)
	v_add_co_u32 v9, s1, 0x1000, v11
	v_add_co_ci_u32_e64 v10, s1, 0, v12, s1
	v_add_co_u32 v11, s1, 0x1ba0, v11
	s_delay_alu instid0(VALU_DEP_1)
	v_add_co_ci_u32_e64 v12, s1, 0, v12, s1
	s_clause 0x1
	global_load_b128 v[27:30], v[9:10], off offset:2976
	global_load_b128 v[31:34], v[11:12], off offset:16
	ds_load_b128 v[9:12], v182 offset:8736
	ds_load_b128 v[13:16], v182 offset:10192
	s_waitcnt vmcnt(1) lgkmcnt(1)
	v_mul_f64 v[25:26], v[11:12], v[29:30]
	scratch_store_b128 off, v[27:30], off offset:576 ; 16-byte Folded Spill
	s_waitcnt vmcnt(0)
	scratch_store_b128 off, v[31:34], off offset:560 ; 16-byte Folded Spill
	v_fma_f64 v[25:26], v[9:10], v[27:28], -v[25:26]
	v_mul_f64 v[9:10], v[9:10], v[29:30]
	s_delay_alu instid0(VALU_DEP_1) | instskip(SKIP_1) | instid1(VALU_DEP_1)
	v_fma_f64 v[27:28], v[11:12], v[27:28], v[9:10]
	v_mul_f64 v[9:10], v[2:3], v[33:34]
	v_fma_f64 v[29:30], v[0:1], v[31:32], -v[9:10]
	v_mul_f64 v[0:1], v[0:1], v[33:34]
	s_delay_alu instid0(VALU_DEP_1) | instskip(SKIP_1) | instid1(VALU_DEP_1)
	v_fma_f64 v[31:32], v[2:3], v[31:32], v[0:1]
	v_lshlrev_b32_e32 v0, 5, v86
	v_add_co_u32 v2, s1, s2, v0
	s_delay_alu instid0(VALU_DEP_1) | instskip(NEXT) | instid1(VALU_DEP_2)
	v_add_co_ci_u32_e64 v3, null, s3, 0, s1
	v_add_co_u32 v0, s1, 0x1000, v2
	s_delay_alu instid0(VALU_DEP_1) | instskip(SKIP_1) | instid1(VALU_DEP_1)
	v_add_co_ci_u32_e64 v1, s1, 0, v3, s1
	v_add_co_u32 v2, s1, 0x1ba0, v2
	v_add_co_ci_u32_e64 v3, s1, 0, v3, s1
	s_clause 0x1
	global_load_b128 v[9:12], v[0:1], off offset:2976
	global_load_b128 v[33:36], v[2:3], off offset:16
	s_waitcnt vmcnt(1) lgkmcnt(0)
	v_mul_f64 v[0:1], v[15:16], v[11:12]
	scratch_store_b128 off, v[9:12], off offset:608 ; 16-byte Folded Spill
	v_fma_f64 v[37:38], v[13:14], v[9:10], -v[0:1]
	v_mul_f64 v[0:1], v[13:14], v[11:12]
	s_delay_alu instid0(VALU_DEP_1)
	v_fma_f64 v[39:40], v[15:16], v[9:10], v[0:1]
	ds_load_b128 v[0:3], v182 offset:17472
	ds_load_b128 v[9:12], v182 offset:18928
	s_waitcnt vmcnt(0)
	scratch_store_b128 off, v[33:36], off offset:592 ; 16-byte Folded Spill
	s_waitcnt lgkmcnt(1)
	v_mul_f64 v[13:14], v[2:3], v[35:36]
	s_delay_alu instid0(VALU_DEP_1) | instskip(SKIP_1) | instid1(VALU_DEP_2)
	v_fma_f64 v[41:42], v[0:1], v[33:34], -v[13:14]
	v_mul_f64 v[0:1], v[0:1], v[35:36]
	v_add_f64 v[48:49], v[37:38], v[41:42]
	s_delay_alu instid0(VALU_DEP_2) | instskip(SKIP_1) | instid1(VALU_DEP_1)
	v_fma_f64 v[46:47], v[2:3], v[33:34], v[0:1]
	v_add_nc_u32_e32 v0, 0x2220, v4
	v_add_co_u32 v2, s1, s2, v0
	s_delay_alu instid0(VALU_DEP_1) | instskip(NEXT) | instid1(VALU_DEP_2)
	v_add_co_ci_u32_e64 v3, null, s3, 0, s1
	v_add_co_u32 v0, s1, 0x1000, v2
	s_delay_alu instid0(VALU_DEP_1) | instskip(SKIP_1) | instid1(VALU_DEP_1)
	v_add_co_ci_u32_e64 v1, s1, 0, v3, s1
	v_add_co_u32 v2, s1, 0x1ba0, v2
	v_add_co_ci_u32_e64 v3, s1, 0, v3, s1
	s_clause 0x1
	global_load_b128 v[68:71], v[0:1], off offset:2976
	global_load_b128 v[72:75], v[2:3], off offset:16
	ds_load_b128 v[0:3], v182 offset:11648
	ds_load_b128 v[13:16], v182 offset:13104
	s_waitcnt vmcnt(1) lgkmcnt(1)
	v_mul_f64 v[33:34], v[2:3], v[70:71]
	scratch_store_b128 off, v[68:71], off offset:640 ; 16-byte Folded Spill
	s_waitcnt vmcnt(0)
	scratch_store_b128 off, v[72:75], off offset:624 ; 16-byte Folded Spill
	v_fma_f64 v[50:51], v[0:1], v[68:69], -v[33:34]
	v_mul_f64 v[0:1], v[0:1], v[70:71]
	s_delay_alu instid0(VALU_DEP_1) | instskip(SKIP_1) | instid1(VALU_DEP_1)
	v_fma_f64 v[68:69], v[2:3], v[68:69], v[0:1]
	v_mul_f64 v[0:1], v[11:12], v[74:75]
	v_fma_f64 v[70:71], v[9:10], v[72:73], -v[0:1]
	v_mul_f64 v[0:1], v[9:10], v[74:75]
	v_add_f64 v[74:75], v[39:40], v[46:47]
	s_delay_alu instid0(VALU_DEP_2) | instskip(SKIP_1) | instid1(VALU_DEP_1)
	v_fma_f64 v[72:73], v[11:12], v[72:73], v[0:1]
	v_add_nc_u32_e32 v0, 0x2d80, v4
	v_add_co_u32 v2, s1, s2, v0
	s_delay_alu instid0(VALU_DEP_1) | instskip(SKIP_1) | instid1(VALU_DEP_2)
	v_add_co_ci_u32_e64 v3, null, s3, 0, s1
	s_mov_b32 s2, 0xe8584caa
	v_add_co_u32 v0, s1, 0x1000, v2
	s_delay_alu instid0(VALU_DEP_1) | instskip(SKIP_1) | instid1(VALU_DEP_1)
	v_add_co_ci_u32_e64 v1, s1, 0, v3, s1
	v_add_co_u32 v2, s1, 0x1ba0, v2
	v_add_co_ci_u32_e64 v3, s1, 0, v3, s1
	s_clause 0x1
	global_load_b128 v[9:12], v[0:1], off offset:2976
	global_load_b128 v[33:36], v[2:3], off offset:16
	s_mov_b32 s3, 0x3febb67a
	s_mov_b32 s8, s2
	v_add_f64 v[84:85], v[68:69], -v[72:73]
	s_waitcnt vmcnt(1) lgkmcnt(0)
	v_mul_f64 v[0:1], v[15:16], v[11:12]
	scratch_store_b128 off, v[9:12], off offset:672 ; 16-byte Folded Spill
	s_waitcnt vmcnt(0)
	scratch_store_b128 off, v[33:36], off offset:656 ; 16-byte Folded Spill
	v_fma_f64 v[76:77], v[13:14], v[9:10], -v[0:1]
	v_mul_f64 v[0:1], v[13:14], v[11:12]
	v_add_f64 v[13:14], v[17:18], v[21:22]
	s_delay_alu instid0(VALU_DEP_2) | instskip(SKIP_3) | instid1(VALU_DEP_1)
	v_fma_f64 v[78:79], v[15:16], v[9:10], v[0:1]
	ds_load_b128 v[0:3], v182 offset:20384
	s_waitcnt lgkmcnt(0)
	v_mul_f64 v[9:10], v[2:3], v[35:36]
	v_fma_f64 v[80:81], v[0:1], v[33:34], -v[9:10]
	v_mul_f64 v[0:1], v[0:1], v[35:36]
	s_delay_alu instid0(VALU_DEP_1)
	v_fma_f64 v[82:83], v[2:3], v[33:34], v[0:1]
	ds_load_b128 v[0:3], v182
	ds_load_b128 v[9:12], v182 offset:1456
	s_waitcnt lgkmcnt(1)
	v_fma_f64 v[15:16], v[13:14], -0.5, v[0:1]
	v_add_f64 v[13:14], v[19:20], v[23:24]
	v_add_f64 v[0:1], v[0:1], v[17:18]
	s_delay_alu instid0(VALU_DEP_2) | instskip(SKIP_2) | instid1(VALU_DEP_4)
	v_fma_f64 v[33:34], v[13:14], -0.5, v[2:3]
	v_add_f64 v[2:3], v[2:3], v[19:20]
	v_add_f64 v[19:20], v[19:20], -v[23:24]
	v_add_f64 v[0:1], v[0:1], v[21:22]
	v_add_f64 v[21:22], v[17:18], -v[21:22]
	s_delay_alu instid0(VALU_DEP_4) | instskip(NEXT) | instid1(VALU_DEP_4)
	v_add_f64 v[2:3], v[2:3], v[23:24]
	v_fma_f64 v[13:14], v[19:20], s[2:3], v[15:16]
	v_fma_f64 v[17:18], v[19:20], s[8:9], v[15:16]
	s_delay_alu instid0(VALU_DEP_4) | instskip(SKIP_3) | instid1(VALU_DEP_1)
	v_fma_f64 v[15:16], v[21:22], s[8:9], v[33:34]
	v_fma_f64 v[19:20], v[21:22], s[2:3], v[33:34]
	v_add_f64 v[21:22], v[25:26], v[29:30]
	s_waitcnt lgkmcnt(0)
	v_fma_f64 v[23:24], v[21:22], -0.5, v[9:10]
	v_add_f64 v[21:22], v[27:28], v[31:32]
	v_add_f64 v[9:10], v[9:10], v[25:26]
	s_delay_alu instid0(VALU_DEP_2) | instskip(SKIP_2) | instid1(VALU_DEP_4)
	v_fma_f64 v[33:34], v[21:22], -0.5, v[11:12]
	v_add_f64 v[11:12], v[11:12], v[27:28]
	v_add_f64 v[27:28], v[27:28], -v[31:32]
	v_add_f64 v[9:10], v[9:10], v[29:30]
	v_add_f64 v[29:30], v[25:26], -v[29:30]
	s_delay_alu instid0(VALU_DEP_4) | instskip(NEXT) | instid1(VALU_DEP_4)
	v_add_f64 v[11:12], v[11:12], v[31:32]
	v_fma_f64 v[21:22], v[27:28], s[2:3], v[23:24]
	v_fma_f64 v[25:26], v[27:28], s[8:9], v[23:24]
	s_delay_alu instid0(VALU_DEP_4)
	v_fma_f64 v[23:24], v[29:30], s[8:9], v[33:34]
	v_fma_f64 v[27:28], v[29:30], s[2:3], v[33:34]
	ds_load_b128 v[29:32], v182 offset:2912
	ds_load_b128 v[33:36], v182 offset:4368
	scratch_store_b32 off, v201, off offset:12 ; 4-byte Folded Spill
	s_waitcnt lgkmcnt(1)
	v_fma_f64 v[48:49], v[48:49], -0.5, v[29:30]
	v_add_f64 v[29:30], v[29:30], v[37:38]
	v_fma_f64 v[74:75], v[74:75], -0.5, v[31:32]
	v_add_f64 v[31:32], v[31:32], v[39:40]
	v_add_f64 v[39:40], v[39:40], -v[46:47]
	s_delay_alu instid0(VALU_DEP_4) | instskip(SKIP_1) | instid1(VALU_DEP_4)
	v_add_f64 v[29:30], v[29:30], v[41:42]
	v_add_f64 v[41:42], v[37:38], -v[41:42]
	v_add_f64 v[31:32], v[31:32], v[46:47]
	s_delay_alu instid0(VALU_DEP_4) | instskip(SKIP_1) | instid1(VALU_DEP_4)
	v_fma_f64 v[37:38], v[39:40], s[2:3], v[48:49]
	v_fma_f64 v[46:47], v[39:40], s[8:9], v[48:49]
	;; [unrolled: 1-line block ×4, first 2 shown]
	v_add_f64 v[41:42], v[50:51], v[70:71]
	v_add_f64 v[74:75], v[68:69], v[72:73]
	s_waitcnt lgkmcnt(0)
	s_delay_alu instid0(VALU_DEP_2) | instskip(NEXT) | instid1(VALU_DEP_2)
	v_fma_f64 v[41:42], v[41:42], -0.5, v[33:34]
	v_fma_f64 v[74:75], v[74:75], -0.5, v[35:36]
	v_add_f64 v[35:36], v[35:36], v[68:69]
	v_add_f64 v[33:34], v[33:34], v[50:51]
	v_add_f64 v[50:51], v[50:51], -v[70:71]
	v_fma_f64 v[68:69], v[84:85], s[2:3], v[41:42]
	s_delay_alu instid0(VALU_DEP_4) | instskip(NEXT) | instid1(VALU_DEP_4)
	v_add_f64 v[35:36], v[35:36], v[72:73]
	v_add_f64 v[33:34], v[33:34], v[70:71]
	v_fma_f64 v[72:73], v[84:85], s[8:9], v[41:42]
	v_fma_f64 v[70:71], v[50:51], s[8:9], v[74:75]
	;; [unrolled: 1-line block ×3, first 2 shown]
	v_add_f64 v[41:42], v[76:77], v[80:81]
	v_add_f64 v[50:51], v[78:79], v[82:83]
	s_delay_alu instid0(VALU_DEP_2) | instskip(NEXT) | instid1(VALU_DEP_2)
	v_fma_f64 v[41:42], v[41:42], -0.5, v[5:6]
	v_fma_f64 v[50:51], v[50:51], -0.5, v[7:8]
	v_add_f64 v[7:8], v[7:8], v[78:79]
	v_add_f64 v[4:5], v[5:6], v[76:77]
	v_add_f64 v[78:79], v[78:79], -v[82:83]
	v_add_f64 v[76:77], v[76:77], -v[80:81]
	s_delay_alu instid0(VALU_DEP_4) | instskip(NEXT) | instid1(VALU_DEP_4)
	v_add_f64 v[6:7], v[7:8], v[82:83]
	v_add_f64 v[4:5], v[4:5], v[80:81]
	ds_store_b128 v183, v[9:12] offset:1456
	ds_store_b128 v183, v[29:32] offset:2912
	;; [unrolled: 1-line block ×6, first 2 shown]
	ds_store_b128 v182, v[0:3]
	ds_store_b128 v182, v[37:40] offset:10192
	ds_store_b128 v182, v[46:49] offset:17472
	;; [unrolled: 1-line block ×6, first 2 shown]
	scratch_load_b64 v[44:45], off, off offset:4 ; 8-byte Folded Reload
	v_fma_f64 v[240:241], v[78:79], s[2:3], v[41:42]
	v_fma_f64 v[242:243], v[76:77], s[8:9], v[50:51]
	;; [unrolled: 1-line block ×4, first 2 shown]
	ds_store_b128 v182, v[240:243] offset:13104
	ds_store_b128 v182, v[244:247] offset:20384
	s_waitcnt vmcnt(0) lgkmcnt(0)
	s_waitcnt_vscnt null, 0x0
	s_barrier
	buffer_gl0_inv
	v_add_co_u32 v0, s1, 0x5000, v44
	s_delay_alu instid0(VALU_DEP_1) | instskip(SKIP_1) | instid1(VALU_DEP_1)
	v_add_co_ci_u32_e64 v1, s1, 0, v45, s1
	v_add_co_u32 v16, s1, 0x5550, v44
	v_add_co_ci_u32_e64 v17, s1, 0, v45, s1
	global_load_b128 v[2:5], v[0:1], off offset:1360
	scratch_store_b64 off, v[0:1], off offset:788 ; 8-byte Folded Spill
	ds_load_b128 v[6:9], v182
	ds_load_b128 v[10:13], v182 offset:1680
	s_waitcnt vmcnt(0) lgkmcnt(1)
	v_mul_f64 v[0:1], v[8:9], v[4:5]
	v_mul_f64 v[4:5], v[6:7], v[4:5]
	s_delay_alu instid0(VALU_DEP_2) | instskip(NEXT) | instid1(VALU_DEP_2)
	v_fma_f64 v[0:1], v[6:7], v[2:3], -v[0:1]
	v_fma_f64 v[2:3], v[8:9], v[2:3], v[4:5]
	s_clause 0x1
	global_load_b128 v[6:9], v[16:17], off offset:1680
	global_load_b128 v[18:21], v[16:17], off offset:3360
	s_waitcnt vmcnt(1) lgkmcnt(0)
	v_mul_f64 v[4:5], v[12:13], v[8:9]
	v_mul_f64 v[8:9], v[10:11], v[8:9]
	s_delay_alu instid0(VALU_DEP_2) | instskip(NEXT) | instid1(VALU_DEP_2)
	v_fma_f64 v[4:5], v[10:11], v[6:7], -v[4:5]
	v_fma_f64 v[6:7], v[12:13], v[6:7], v[8:9]
	ds_load_b128 v[8:11], v182 offset:3360
	ds_load_b128 v[12:15], v182 offset:5040
	s_waitcnt vmcnt(0) lgkmcnt(1)
	v_mul_f64 v[22:23], v[10:11], v[20:21]
	v_mul_f64 v[20:21], v[8:9], v[20:21]
	s_delay_alu instid0(VALU_DEP_2) | instskip(SKIP_1) | instid1(VALU_DEP_1)
	v_fma_f64 v[8:9], v[8:9], v[18:19], -v[22:23]
	v_add_co_u32 v22, s1, 0x6000, v44
	v_add_co_ci_u32_e64 v23, s1, 0, v45, s1
	s_delay_alu instid0(VALU_DEP_4)
	v_fma_f64 v[10:11], v[10:11], v[18:19], v[20:21]
	s_clause 0x1
	global_load_b128 v[18:21], v[22:23], off offset:2304
	global_load_b128 v[22:25], v[22:23], off offset:3984
	s_waitcnt vmcnt(1) lgkmcnt(0)
	v_mul_f64 v[26:27], v[14:15], v[20:21]
	v_mul_f64 v[20:21], v[12:13], v[20:21]
	s_delay_alu instid0(VALU_DEP_2) | instskip(NEXT) | instid1(VALU_DEP_2)
	v_fma_f64 v[12:13], v[12:13], v[18:19], -v[26:27]
	v_fma_f64 v[14:15], v[14:15], v[18:19], v[20:21]
	ds_load_b128 v[18:21], v182 offset:6720
	ds_load_b128 v[26:29], v182 offset:8400
	s_waitcnt vmcnt(0) lgkmcnt(1)
	v_mul_f64 v[30:31], v[20:21], v[24:25]
	v_mul_f64 v[24:25], v[18:19], v[24:25]
	s_delay_alu instid0(VALU_DEP_2) | instskip(SKIP_1) | instid1(VALU_DEP_1)
	v_fma_f64 v[18:19], v[18:19], v[22:23], -v[30:31]
	v_add_co_u32 v30, s1, 0x7000, v44
	v_add_co_ci_u32_e64 v31, s1, 0, v45, s1
	s_delay_alu instid0(VALU_DEP_4)
	;; [unrolled: 20-line block ×5, first 2 shown]
	v_fma_f64 v[70:71], v[70:71], v[72:73], v[42:43]
	s_clause 0x1
	global_load_b128 v[72:75], v[22:23], off offset:3456
	global_load_b128 v[80:83], v[32:33], off offset:1040
	ds_load_b128 v[84:87], v182 offset:20160
	s_waitcnt vmcnt(1) lgkmcnt(1)
	v_mul_f64 v[22:23], v[78:79], v[74:75]
	v_mul_f64 v[32:33], v[76:77], v[74:75]
	s_delay_alu instid0(VALU_DEP_2) | instskip(NEXT) | instid1(VALU_DEP_2)
	v_fma_f64 v[74:75], v[76:77], v[72:73], -v[22:23]
	v_fma_f64 v[76:77], v[78:79], v[72:73], v[32:33]
	s_waitcnt vmcnt(0) lgkmcnt(0)
	v_mul_f64 v[22:23], v[86:87], v[82:83]
	v_mul_f64 v[32:33], v[84:85], v[82:83]
	s_delay_alu instid0(VALU_DEP_2) | instskip(NEXT) | instid1(VALU_DEP_2)
	v_fma_f64 v[78:79], v[84:85], v[80:81], -v[22:23]
	v_fma_f64 v[80:81], v[86:87], v[80:81], v[32:33]
	ds_store_b128 v182, v[0:3]
	ds_store_b128 v182, v[4:7] offset:1680
	ds_store_b128 v182, v[8:11] offset:3360
	;; [unrolled: 1-line block ×12, first 2 shown]
	s_and_saveexec_b32 s2, vcc_lo
	s_cbranch_execz .LBB0_13
; %bb.12:
	s_clause 0x1
	global_load_b128 v[0:3], v[16:17], off offset:1456
	global_load_b128 v[4:7], v[16:17], off offset:3136
	v_add_co_u32 v18, s1, 0x1000, v16
	s_delay_alu instid0(VALU_DEP_1)
	v_add_co_ci_u32_e64 v19, s1, 0, v17, s1
	v_add_co_u32 v26, s1, 0x2000, v16
	s_clause 0x2
	global_load_b128 v[8:11], v[18:19], off offset:720
	global_load_b128 v[12:15], v[18:19], off offset:2400
	;; [unrolled: 1-line block ×3, first 2 shown]
	v_add_co_ci_u32_e64 v27, s1, 0, v17, s1
	s_clause 0x1
	global_load_b128 v[22:25], v[26:27], off offset:1664
	global_load_b128 v[26:29], v[26:27], off offset:3344
	v_add_co_u32 v34, s1, 0x3000, v16
	s_delay_alu instid0(VALU_DEP_1)
	v_add_co_ci_u32_e64 v35, s1, 0, v17, s1
	s_clause 0x1
	global_load_b128 v[30:33], v[34:35], off offset:928
	global_load_b128 v[34:37], v[34:35], off offset:2608
	ds_load_b128 v[38:41], v183 offset:1456
	ds_load_b128 v[46:49], v183 offset:3136
	v_add_co_u32 v42, s1, 0x4000, v16
	s_delay_alu instid0(VALU_DEP_1)
	v_add_co_ci_u32_e64 v43, s1, 0, v17, s1
	ds_load_b128 v[72:75], v183 offset:4816
	v_add_co_u32 v16, s1, 0x5000, v16
	global_load_b128 v[68:71], v[42:43], off offset:192
	v_add_co_ci_u32_e64 v17, s1, 0, v17, s1
	s_waitcnt vmcnt(9) lgkmcnt(2)
	v_mul_f64 v[50:51], v[40:41], v[2:3]
	v_mul_f64 v[2:3], v[38:39], v[2:3]
	s_waitcnt vmcnt(8) lgkmcnt(1)
	v_mul_f64 v[76:77], v[48:49], v[6:7]
	v_mul_f64 v[6:7], v[46:47], v[6:7]
	s_delay_alu instid0(VALU_DEP_4) | instskip(NEXT) | instid1(VALU_DEP_4)
	v_fma_f64 v[38:39], v[38:39], v[0:1], -v[50:51]
	v_fma_f64 v[40:41], v[40:41], v[0:1], v[2:3]
	ds_load_b128 v[0:3], v183 offset:6496
	s_waitcnt vmcnt(7) lgkmcnt(1)
	v_mul_f64 v[50:51], v[74:75], v[10:11]
	v_fma_f64 v[46:47], v[46:47], v[4:5], -v[76:77]
	v_fma_f64 v[48:49], v[48:49], v[4:5], v[6:7]
	global_load_b128 v[4:7], v[42:43], off offset:1872
	v_mul_f64 v[10:11], v[72:73], v[10:11]
	ds_load_b128 v[76:79], v183 offset:8176
	s_waitcnt vmcnt(7) lgkmcnt(1)
	v_mul_f64 v[80:81], v[2:3], v[14:15]
	v_mul_f64 v[14:15], v[0:1], v[14:15]
	v_fma_f64 v[72:73], v[72:73], v[8:9], -v[50:51]
	v_fma_f64 v[74:75], v[74:75], v[8:9], v[10:11]
	global_load_b128 v[8:11], v[42:43], off offset:3552
	v_fma_f64 v[0:1], v[0:1], v[12:13], -v[80:81]
	global_load_b128 v[80:83], v[16:17], off offset:1136
	v_fma_f64 v[2:3], v[2:3], v[12:13], v[14:15]
	ds_load_b128 v[12:15], v183 offset:9856
	s_waitcnt vmcnt(8) lgkmcnt(1)
	v_mul_f64 v[42:43], v[78:79], v[20:21]
	v_mul_f64 v[20:21], v[76:77], v[20:21]
	s_delay_alu instid0(VALU_DEP_2) | instskip(NEXT) | instid1(VALU_DEP_2)
	v_fma_f64 v[16:17], v[76:77], v[18:19], -v[42:43]
	v_fma_f64 v[18:19], v[78:79], v[18:19], v[20:21]
	s_waitcnt vmcnt(7) lgkmcnt(0)
	v_mul_f64 v[20:21], v[14:15], v[24:25]
	v_mul_f64 v[24:25], v[12:13], v[24:25]
	ds_load_b128 v[76:79], v183 offset:11536
	v_fma_f64 v[12:13], v[12:13], v[22:23], -v[20:21]
	v_fma_f64 v[14:15], v[14:15], v[22:23], v[24:25]
	ds_load_b128 v[20:23], v183 offset:13216
	s_waitcnt vmcnt(6) lgkmcnt(1)
	v_mul_f64 v[24:25], v[78:79], v[28:29]
	v_mul_f64 v[28:29], v[76:77], v[28:29]
	s_delay_alu instid0(VALU_DEP_2) | instskip(NEXT) | instid1(VALU_DEP_2)
	v_fma_f64 v[24:25], v[76:77], v[26:27], -v[24:25]
	v_fma_f64 v[26:27], v[78:79], v[26:27], v[28:29]
	s_waitcnt vmcnt(5) lgkmcnt(0)
	v_mul_f64 v[28:29], v[22:23], v[32:33]
	v_mul_f64 v[32:33], v[20:21], v[32:33]
	ds_load_b128 v[76:79], v183 offset:14896
	v_fma_f64 v[20:21], v[20:21], v[30:31], -v[28:29]
	v_fma_f64 v[22:23], v[22:23], v[30:31], v[32:33]
	ds_load_b128 v[28:31], v183 offset:16576
	s_waitcnt vmcnt(4) lgkmcnt(1)
	v_mul_f64 v[32:33], v[78:79], v[36:37]
	v_mul_f64 v[36:37], v[76:77], v[36:37]
	s_waitcnt vmcnt(3) lgkmcnt(0)
	v_mul_f64 v[42:43], v[28:29], v[70:71]
	s_delay_alu instid0(VALU_DEP_3) | instskip(NEXT) | instid1(VALU_DEP_3)
	v_fma_f64 v[32:33], v[76:77], v[34:35], -v[32:33]
	v_fma_f64 v[34:35], v[78:79], v[34:35], v[36:37]
	v_mul_f64 v[36:37], v[30:31], v[70:71]
	ds_load_b128 v[76:79], v183 offset:18256
	v_fma_f64 v[30:31], v[30:31], v[68:69], v[42:43]
	v_fma_f64 v[28:29], v[28:29], v[68:69], -v[36:37]
	ds_load_b128 v[68:71], v183 offset:19936
	s_waitcnt vmcnt(2) lgkmcnt(1)
	v_mul_f64 v[36:37], v[78:79], v[6:7]
	v_mul_f64 v[6:7], v[76:77], v[6:7]
	s_delay_alu instid0(VALU_DEP_2) | instskip(NEXT) | instid1(VALU_DEP_2)
	v_fma_f64 v[76:77], v[76:77], v[4:5], -v[36:37]
	v_fma_f64 v[78:79], v[78:79], v[4:5], v[6:7]
	s_waitcnt vmcnt(1) lgkmcnt(0)
	v_mul_f64 v[36:37], v[70:71], v[10:11]
	v_mul_f64 v[10:11], v[68:69], v[10:11]
	ds_load_b128 v[4:7], v183 offset:21616
	v_fma_f64 v[68:69], v[68:69], v[8:9], -v[36:37]
	v_fma_f64 v[70:71], v[70:71], v[8:9], v[10:11]
	s_waitcnt vmcnt(0) lgkmcnt(0)
	v_mul_f64 v[8:9], v[6:7], v[82:83]
	v_mul_f64 v[10:11], v[4:5], v[82:83]
	s_delay_alu instid0(VALU_DEP_2) | instskip(NEXT) | instid1(VALU_DEP_2)
	v_fma_f64 v[4:5], v[4:5], v[80:81], -v[8:9]
	v_fma_f64 v[6:7], v[6:7], v[80:81], v[10:11]
	ds_store_b128 v183, v[38:41] offset:1456
	ds_store_b128 v183, v[46:49] offset:3136
	;; [unrolled: 1-line block ×13, first 2 shown]
.LBB0_13:
	s_or_b32 exec_lo, exec_lo, s2
	s_waitcnt lgkmcnt(0)
	s_waitcnt_vscnt null, 0x0
	s_barrier
	buffer_gl0_inv
	ds_load_b128 v[4:7], v182
	ds_load_b128 v[0:3], v182 offset:1680
	ds_load_b128 v[8:11], v182 offset:3360
	;; [unrolled: 1-line block ×12, first 2 shown]
	s_and_saveexec_b32 s1, vcc_lo
	s_cbranch_execz .LBB0_15
; %bb.14:
	ds_load_b128 v[240:243], v183 offset:1456
	ds_load_b128 v[244:247], v183 offset:3136
	;; [unrolled: 1-line block ×13, first 2 shown]
.LBB0_15:
	s_or_b32 exec_lo, exec_lo, s1
	s_waitcnt lgkmcnt(11)
	v_add_f64 v[46:47], v[4:5], v[0:1]
	v_add_f64 v[48:49], v[6:7], v[2:3]
	s_waitcnt lgkmcnt(4)
	v_add_f64 v[74:75], v[36:37], v[40:41]
	v_add_f64 v[76:77], v[38:39], v[42:43]
	s_waitcnt lgkmcnt(3)
	v_add_f64 v[78:79], v[28:29], -v[32:33]
	v_add_f64 v[80:81], v[30:31], -v[34:35]
	s_waitcnt lgkmcnt(2)
	v_add_f64 v[82:83], v[16:17], v[24:25]
	v_add_f64 v[84:85], v[16:17], -v[24:25]
	s_waitcnt lgkmcnt(1)
	v_add_f64 v[86:87], v[8:9], v[20:21]
	v_add_f64 v[88:89], v[8:9], -v[20:21]
	s_mov_b32 s36, 0x4267c47c
	s_mov_b32 s28, 0x42a4c3d2
	;; [unrolled: 1-line block ×28, first 2 shown]
	v_add_f64 v[46:47], v[46:47], v[8:9]
	v_add_f64 v[48:49], v[48:49], v[10:11]
	s_mov_b32 s30, s24
	s_mov_b32 s40, s20
	;; [unrolled: 1-line block ×5, first 2 shown]
	v_mul_f64 v[133:134], v[80:81], s[20:21]
	v_add_f64 v[72:73], v[254:255], -v[250:251]
	v_mul_f64 v[139:140], v[76:77], s[8:9]
	v_add_f64 v[50:51], v[252:253], v[248:249]
	v_add_f64 v[68:69], v[254:255], v[250:251]
	v_add_f64 v[70:71], v[252:253], -v[248:249]
	v_mul_f64 v[147:148], v[76:77], s[14:15]
	s_waitcnt lgkmcnt(0)
	s_barrier
	buffer_gl0_inv
	v_add_f64 v[184:185], v[168:169], -v[228:229]
	v_add_f64 v[186:187], v[166:167], -v[226:227]
	;; [unrolled: 1-line block ×8, first 2 shown]
	v_add_f64 v[46:47], v[46:47], v[16:17]
	v_add_f64 v[48:49], v[48:49], v[18:19]
	v_mul_f64 v[141:142], v[72:73], s[26:27]
	v_mul_f64 v[149:150], v[72:73], s[38:39]
	;; [unrolled: 1-line block ×3, first 2 shown]
	v_add_f64 v[46:47], v[46:47], v[28:29]
	v_add_f64 v[48:49], v[48:49], v[30:31]
	s_delay_alu instid0(VALU_DEP_2) | instskip(NEXT) | instid1(VALU_DEP_2)
	v_add_f64 v[46:47], v[46:47], v[36:37]
	v_add_f64 v[48:49], v[48:49], v[38:39]
	v_add_f64 v[36:37], v[36:37], -v[40:41]
	v_add_f64 v[38:39], v[38:39], -v[42:43]
	s_delay_alu instid0(VALU_DEP_4) | instskip(NEXT) | instid1(VALU_DEP_4)
	v_add_f64 v[46:47], v[46:47], v[252:253]
	v_add_f64 v[48:49], v[48:49], v[254:255]
	s_delay_alu instid0(VALU_DEP_3) | instskip(SKIP_1) | instid1(VALU_DEP_4)
	v_mul_f64 v[137:138], v[38:39], s[22:23]
	v_mul_f64 v[145:146], v[38:39], s[30:31]
	v_add_f64 v[46:47], v[46:47], v[248:249]
	s_delay_alu instid0(VALU_DEP_4) | instskip(NEXT) | instid1(VALU_DEP_2)
	v_add_f64 v[48:49], v[48:49], v[250:251]
	v_add_f64 v[40:41], v[46:47], v[40:41]
	s_delay_alu instid0(VALU_DEP_2) | instskip(SKIP_2) | instid1(VALU_DEP_4)
	v_add_f64 v[42:43], v[48:49], v[42:43]
	v_add_f64 v[46:47], v[28:29], v[32:33]
	v_add_f64 v[48:49], v[30:31], v[34:35]
	v_add_f64 v[28:29], v[40:41], v[32:33]
	s_delay_alu instid0(VALU_DEP_4)
	v_add_f64 v[30:31], v[42:43], v[34:35]
	v_add_f64 v[32:33], v[18:19], v[26:27]
	v_add_f64 v[34:35], v[18:19], -v[26:27]
	v_add_f64 v[40:41], v[10:11], v[22:23]
	v_add_f64 v[42:43], v[10:11], -v[22:23]
	v_mul_f64 v[135:136], v[48:49], s[12:13]
	v_add_f64 v[16:17], v[28:29], v[24:25]
	v_add_f64 v[18:19], v[30:31], v[26:27]
	v_mul_f64 v[131:132], v[32:33], s[14:15]
	v_mul_f64 v[129:130], v[34:35], s[24:25]
	;; [unrolled: 1-line block ×4, first 2 shown]
	v_add_f64 v[8:9], v[16:17], v[20:21]
	v_add_f64 v[10:11], v[18:19], v[22:23]
	v_add_f64 v[16:17], v[2:3], -v[14:15]
	v_add_f64 v[18:19], v[0:1], v[12:13]
	v_add_f64 v[20:21], v[2:3], v[14:15]
	v_add_f64 v[22:23], v[0:1], -v[12:13]
	v_add_f64 v[0:1], v[8:9], v[12:13]
	v_add_f64 v[2:3], v[10:11], v[14:15]
	v_mul_f64 v[8:9], v[16:17], s[36:37]
	v_mul_f64 v[10:11], v[16:17], s[28:29]
	;; [unrolled: 1-line block ×10, first 2 shown]
	v_fma_f64 v[26:27], v[18:19], s[18:19], v[8:9]
	v_fma_f64 v[8:9], v[18:19], s[18:19], -v[8:9]
	v_fma_f64 v[28:29], v[18:19], s[16:17], v[10:11]
	v_fma_f64 v[10:11], v[18:19], s[16:17], -v[10:11]
	;; [unrolled: 2-line block ×6, first 2 shown]
	v_mul_f64 v[18:19], v[20:21], s[18:19]
	v_mul_f64 v[20:21], v[20:21], s[2:3]
	v_fma_f64 v[107:108], v[22:23], s[34:35], v[96:97]
	v_fma_f64 v[96:97], v[22:23], s[28:29], v[96:97]
	;; [unrolled: 1-line block ×8, first 2 shown]
	v_add_f64 v[10:11], v[4:5], v[10:11]
	v_add_f64 v[30:31], v[4:5], v[30:31]
	;; [unrolled: 1-line block ×7, first 2 shown]
	v_fma_f64 v[105:106], v[22:23], s[38:39], v[18:19]
	v_fma_f64 v[18:19], v[22:23], s[36:37], v[18:19]
	;; [unrolled: 1-line block ×4, first 2 shown]
	v_add_f64 v[22:23], v[4:5], v[26:27]
	v_mul_f64 v[16:17], v[42:43], s[20:21]
	v_add_f64 v[98:99], v[6:7], v[98:99]
	v_add_f64 v[100:101], v[6:7], v[100:101]
	;; [unrolled: 1-line block ×4, first 2 shown]
	v_mul_f64 v[24:25], v[80:81], s[42:43]
	v_add_f64 v[26:27], v[6:7], v[105:106]
	v_add_f64 v[105:106], v[4:5], v[8:9]
	;; [unrolled: 1-line block ×10, first 2 shown]
	v_fma_f64 v[4:5], v[86:87], s[16:17], v[125:126]
	v_add_f64 v[115:116], v[6:7], v[115:116]
	v_add_f64 v[123:124], v[6:7], v[20:21]
	v_fma_f64 v[6:7], v[88:89], s[34:35], v[127:128]
	v_fma_f64 v[12:13], v[82:83], s[14:15], v[129:130]
	v_mul_f64 v[20:21], v[40:41], s[12:13]
	v_add_f64 v[4:5], v[4:5], v[22:23]
	v_mul_f64 v[22:23], v[32:33], s[2:3]
	v_add_f64 v[6:7], v[6:7], v[26:27]
	v_mul_f64 v[26:27], v[48:49], s[8:9]
	s_delay_alu instid0(VALU_DEP_4) | instskip(SKIP_1) | instid1(VALU_DEP_1)
	v_add_f64 v[4:5], v[12:13], v[4:5]
	v_fma_f64 v[12:13], v[84:85], s[30:31], v[131:132]
	v_add_f64 v[6:7], v[12:13], v[6:7]
	v_fma_f64 v[12:13], v[46:47], s[12:13], v[133:134]
	s_delay_alu instid0(VALU_DEP_1) | instskip(SKIP_1) | instid1(VALU_DEP_1)
	v_add_f64 v[4:5], v[12:13], v[4:5]
	v_fma_f64 v[12:13], v[78:79], s[40:41], v[135:136]
	v_add_f64 v[6:7], v[12:13], v[6:7]
	v_fma_f64 v[12:13], v[74:75], s[8:9], v[137:138]
	s_delay_alu instid0(VALU_DEP_1) | instskip(SKIP_1) | instid1(VALU_DEP_1)
	;; [unrolled: 5-line block ×3, first 2 shown]
	v_add_f64 v[4:5], v[12:13], v[4:5]
	v_fma_f64 v[12:13], v[70:71], s[44:45], v[143:144]
	v_add_f64 v[6:7], v[12:13], v[6:7]
	v_fma_f64 v[12:13], v[86:87], s[12:13], v[16:17]
	v_fma_f64 v[16:17], v[86:87], s[12:13], -v[16:17]
	s_delay_alu instid0(VALU_DEP_2) | instskip(SKIP_1) | instid1(VALU_DEP_3)
	v_add_f64 v[8:9], v[12:13], v[8:9]
	v_fma_f64 v[12:13], v[88:89], s[40:41], v[20:21]
	v_add_f64 v[10:11], v[16:17], v[10:11]
	v_fma_f64 v[16:17], v[88:89], s[20:21], v[20:21]
	s_delay_alu instid0(VALU_DEP_3) | instskip(SKIP_1) | instid1(VALU_DEP_3)
	v_add_f64 v[12:13], v[12:13], v[18:19]
	v_mul_f64 v[18:19], v[34:35], s[26:27]
	v_add_f64 v[16:17], v[16:17], v[28:29]
	s_delay_alu instid0(VALU_DEP_2) | instskip(SKIP_1) | instid1(VALU_DEP_2)
	v_fma_f64 v[14:15], v[82:83], s[2:3], v[18:19]
	v_fma_f64 v[18:19], v[82:83], s[2:3], -v[18:19]
	v_add_f64 v[8:9], v[14:15], v[8:9]
	v_fma_f64 v[14:15], v[84:85], s[44:45], v[22:23]
	s_delay_alu instid0(VALU_DEP_3) | instskip(SKIP_1) | instid1(VALU_DEP_3)
	v_add_f64 v[10:11], v[18:19], v[10:11]
	v_fma_f64 v[18:19], v[84:85], s[26:27], v[22:23]
	v_add_f64 v[12:13], v[14:15], v[12:13]
	v_fma_f64 v[14:15], v[46:47], s[8:9], v[24:25]
	s_delay_alu instid0(VALU_DEP_3) | instskip(SKIP_2) | instid1(VALU_DEP_4)
	v_add_f64 v[16:17], v[18:19], v[16:17]
	v_fma_f64 v[18:19], v[46:47], s[8:9], -v[24:25]
	v_mul_f64 v[24:25], v[34:35], s[40:41]
	v_add_f64 v[8:9], v[14:15], v[8:9]
	v_fma_f64 v[14:15], v[78:79], s[22:23], v[26:27]
	s_delay_alu instid0(VALU_DEP_4) | instskip(SKIP_2) | instid1(VALU_DEP_4)
	v_add_f64 v[10:11], v[18:19], v[10:11]
	v_fma_f64 v[18:19], v[78:79], s[42:43], v[26:27]
	v_fma_f64 v[26:27], v[82:83], s[12:13], v[24:25]
	v_add_f64 v[12:13], v[14:15], v[12:13]
	v_fma_f64 v[14:15], v[74:75], s[14:15], v[145:146]
	s_delay_alu instid0(VALU_DEP_4) | instskip(SKIP_1) | instid1(VALU_DEP_3)
	v_add_f64 v[16:17], v[18:19], v[16:17]
	v_fma_f64 v[18:19], v[74:75], s[14:15], -v[145:146]
	v_add_f64 v[8:9], v[14:15], v[8:9]
	v_fma_f64 v[14:15], v[36:37], s[24:25], v[147:148]
	s_delay_alu instid0(VALU_DEP_3) | instskip(SKIP_1) | instid1(VALU_DEP_3)
	v_add_f64 v[10:11], v[18:19], v[10:11]
	v_fma_f64 v[18:19], v[36:37], s[30:31], v[147:148]
	v_add_f64 v[14:15], v[14:15], v[12:13]
	v_fma_f64 v[12:13], v[50:51], s[18:19], v[149:150]
	s_delay_alu instid0(VALU_DEP_3) | instskip(SKIP_1) | instid1(VALU_DEP_3)
	v_add_f64 v[16:17], v[18:19], v[16:17]
	v_fma_f64 v[18:19], v[50:51], s[18:19], -v[149:150]
	v_add_f64 v[12:13], v[12:13], v[8:9]
	v_mul_f64 v[8:9], v[68:69], s[18:19]
	s_delay_alu instid0(VALU_DEP_1) | instskip(SKIP_2) | instid1(VALU_DEP_3)
	v_fma_f64 v[20:21], v[70:71], s[38:39], v[8:9]
	v_fma_f64 v[151:152], v[70:71], s[36:37], v[8:9]
	v_add_f64 v[8:9], v[18:19], v[10:11]
	v_add_f64 v[10:11], v[20:21], v[16:17]
	v_mul_f64 v[16:17], v[42:43], s[26:27]
	v_mul_f64 v[20:21], v[40:41], s[2:3]
	v_add_f64 v[14:15], v[151:152], v[14:15]
	s_delay_alu instid0(VALU_DEP_3) | instskip(NEXT) | instid1(VALU_DEP_3)
	v_fma_f64 v[18:19], v[86:87], s[2:3], v[16:17]
	v_fma_f64 v[22:23], v[88:89], s[44:45], v[20:21]
	v_fma_f64 v[16:17], v[86:87], s[2:3], -v[16:17]
	v_fma_f64 v[20:21], v[88:89], s[26:27], v[20:21]
	s_delay_alu instid0(VALU_DEP_4) | instskip(NEXT) | instid1(VALU_DEP_4)
	v_add_f64 v[18:19], v[18:19], v[30:31]
	v_add_f64 v[22:23], v[22:23], v[96:97]
	s_delay_alu instid0(VALU_DEP_4) | instskip(NEXT) | instid1(VALU_DEP_4)
	v_add_f64 v[16:17], v[16:17], v[107:108]
	v_add_f64 v[20:21], v[20:21], v[98:99]
	s_delay_alu instid0(VALU_DEP_4) | instskip(SKIP_1) | instid1(VALU_DEP_1)
	v_add_f64 v[18:19], v[26:27], v[18:19]
	v_mul_f64 v[26:27], v[32:33], s[12:13]
	v_fma_f64 v[28:29], v[84:85], s[20:21], v[26:27]
	s_delay_alu instid0(VALU_DEP_1) | instskip(SKIP_1) | instid1(VALU_DEP_1)
	v_add_f64 v[22:23], v[28:29], v[22:23]
	v_mul_f64 v[28:29], v[80:81], s[38:39]
	v_fma_f64 v[30:31], v[46:47], s[18:19], v[28:29]
	s_delay_alu instid0(VALU_DEP_1) | instskip(SKIP_1) | instid1(VALU_DEP_1)
	v_add_f64 v[18:19], v[30:31], v[18:19]
	v_mul_f64 v[30:31], v[48:49], s[18:19]
	v_fma_f64 v[96:97], v[78:79], s[36:37], v[30:31]
	s_delay_alu instid0(VALU_DEP_1) | instskip(SKIP_1) | instid1(VALU_DEP_1)
	v_add_f64 v[22:23], v[96:97], v[22:23]
	v_mul_f64 v[96:97], v[38:39], s[28:29]
	v_fma_f64 v[145:146], v[74:75], s[16:17], v[96:97]
	s_delay_alu instid0(VALU_DEP_1) | instskip(SKIP_1) | instid1(VALU_DEP_1)
	v_add_f64 v[18:19], v[145:146], v[18:19]
	v_mul_f64 v[145:146], v[76:77], s[16:17]
	v_fma_f64 v[147:148], v[36:37], s[34:35], v[145:146]
	s_delay_alu instid0(VALU_DEP_1) | instskip(SKIP_1) | instid1(VALU_DEP_1)
	v_add_f64 v[22:23], v[147:148], v[22:23]
	v_mul_f64 v[147:148], v[72:73], s[22:23]
	v_fma_f64 v[149:150], v[50:51], s[8:9], v[147:148]
	s_delay_alu instid0(VALU_DEP_1) | instskip(SKIP_1) | instid1(VALU_DEP_1)
	v_add_f64 v[248:249], v[149:150], v[18:19]
	v_mul_f64 v[18:19], v[68:69], s[8:9]
	v_fma_f64 v[149:150], v[70:71], s[42:43], v[18:19]
	v_fma_f64 v[18:19], v[70:71], s[22:23], v[18:19]
	s_delay_alu instid0(VALU_DEP_2) | instskip(SKIP_2) | instid1(VALU_DEP_2)
	v_add_f64 v[250:251], v[149:150], v[22:23]
	v_fma_f64 v[22:23], v[82:83], s[12:13], -v[24:25]
	v_mul_f64 v[24:25], v[42:43], s[42:43]
	v_add_f64 v[16:17], v[22:23], v[16:17]
	v_fma_f64 v[22:23], v[84:85], s[40:41], v[26:27]
	v_mul_f64 v[26:27], v[40:41], s[8:9]
	s_delay_alu instid0(VALU_DEP_2) | instskip(SKIP_2) | instid1(VALU_DEP_2)
	v_add_f64 v[20:21], v[22:23], v[20:21]
	v_fma_f64 v[22:23], v[46:47], s[18:19], -v[28:29]
	v_mul_f64 v[28:29], v[34:35], s[38:39]
	v_add_f64 v[16:17], v[22:23], v[16:17]
	v_fma_f64 v[22:23], v[78:79], s[38:39], v[30:31]
	s_delay_alu instid0(VALU_DEP_3) | instskip(SKIP_1) | instid1(VALU_DEP_3)
	v_fma_f64 v[30:31], v[82:83], s[18:19], v[28:29]
	v_fma_f64 v[28:29], v[82:83], s[18:19], -v[28:29]
	v_add_f64 v[20:21], v[22:23], v[20:21]
	v_fma_f64 v[22:23], v[74:75], s[16:17], -v[96:97]
	s_delay_alu instid0(VALU_DEP_1) | instskip(SKIP_1) | instid1(VALU_DEP_1)
	v_add_f64 v[16:17], v[22:23], v[16:17]
	v_fma_f64 v[22:23], v[36:37], s[28:29], v[145:146]
	v_add_f64 v[20:21], v[22:23], v[20:21]
	v_fma_f64 v[22:23], v[50:51], s[8:9], -v[147:148]
	s_delay_alu instid0(VALU_DEP_2) | instskip(SKIP_1) | instid1(VALU_DEP_3)
	v_add_f64 v[18:19], v[18:19], v[20:21]
	v_fma_f64 v[20:21], v[86:87], s[8:9], v[24:25]
	v_add_f64 v[16:17], v[22:23], v[16:17]
	v_fma_f64 v[22:23], v[88:89], s[22:23], v[26:27]
	v_fma_f64 v[24:25], v[86:87], s[8:9], -v[24:25]
	v_fma_f64 v[26:27], v[88:89], s[42:43], v[26:27]
	v_add_f64 v[20:21], v[20:21], v[90:91]
	s_delay_alu instid0(VALU_DEP_4) | instskip(NEXT) | instid1(VALU_DEP_4)
	v_add_f64 v[22:23], v[22:23], v[109:110]
	v_add_f64 v[24:25], v[24:25], v[111:112]
	s_delay_alu instid0(VALU_DEP_4) | instskip(NEXT) | instid1(VALU_DEP_4)
	v_add_f64 v[26:27], v[26:27], v[100:101]
	v_add_f64 v[20:21], v[30:31], v[20:21]
	v_mul_f64 v[30:31], v[32:33], s[18:19]
	s_delay_alu instid0(VALU_DEP_4) | instskip(NEXT) | instid1(VALU_DEP_2)
	v_add_f64 v[24:25], v[28:29], v[24:25]
	v_fma_f64 v[90:91], v[84:85], s[36:37], v[30:31]
	v_fma_f64 v[28:29], v[84:85], s[38:39], v[30:31]
	s_delay_alu instid0(VALU_DEP_2) | instskip(SKIP_1) | instid1(VALU_DEP_3)
	v_add_f64 v[22:23], v[90:91], v[22:23]
	v_mul_f64 v[90:91], v[80:81], s[24:25]
	v_add_f64 v[26:27], v[28:29], v[26:27]
	s_delay_alu instid0(VALU_DEP_2) | instskip(SKIP_2) | instid1(VALU_DEP_3)
	v_fma_f64 v[96:97], v[46:47], s[14:15], v[90:91]
	v_fma_f64 v[28:29], v[46:47], s[14:15], -v[90:91]
	v_mul_f64 v[90:91], v[34:35], s[28:29]
	v_add_f64 v[20:21], v[96:97], v[20:21]
	v_mul_f64 v[96:97], v[48:49], s[14:15]
	s_delay_alu instid0(VALU_DEP_4) | instskip(NEXT) | instid1(VALU_DEP_2)
	v_add_f64 v[24:25], v[28:29], v[24:25]
	v_fma_f64 v[98:99], v[78:79], s[30:31], v[96:97]
	v_fma_f64 v[28:29], v[78:79], s[24:25], v[96:97]
	s_delay_alu instid0(VALU_DEP_2) | instskip(SKIP_1) | instid1(VALU_DEP_3)
	v_add_f64 v[22:23], v[98:99], v[22:23]
	v_mul_f64 v[98:99], v[38:39], s[44:45]
	v_add_f64 v[26:27], v[28:29], v[26:27]
	s_delay_alu instid0(VALU_DEP_2) | instskip(SKIP_1) | instid1(VALU_DEP_2)
	v_fma_f64 v[107:108], v[74:75], s[2:3], v[98:99]
	v_fma_f64 v[28:29], v[74:75], s[2:3], -v[98:99]
	v_add_f64 v[20:21], v[107:108], v[20:21]
	v_mul_f64 v[107:108], v[76:77], s[2:3]
	s_delay_alu instid0(VALU_DEP_3) | instskip(NEXT) | instid1(VALU_DEP_2)
	v_add_f64 v[24:25], v[28:29], v[24:25]
	v_fma_f64 v[109:110], v[36:37], s[26:27], v[107:108]
	v_fma_f64 v[28:29], v[36:37], s[44:45], v[107:108]
	s_delay_alu instid0(VALU_DEP_2) | instskip(SKIP_1) | instid1(VALU_DEP_3)
	v_add_f64 v[22:23], v[109:110], v[22:23]
	v_mul_f64 v[109:110], v[72:73], s[34:35]
	v_add_f64 v[26:27], v[28:29], v[26:27]
	s_delay_alu instid0(VALU_DEP_2) | instskip(SKIP_1) | instid1(VALU_DEP_2)
	v_fma_f64 v[145:146], v[50:51], s[16:17], v[109:110]
	v_fma_f64 v[28:29], v[50:51], s[16:17], -v[109:110]
	v_add_f64 v[20:21], v[145:146], v[20:21]
	v_mul_f64 v[145:146], v[68:69], s[16:17]
	s_delay_alu instid0(VALU_DEP_3) | instskip(SKIP_2) | instid1(VALU_DEP_4)
	v_add_f64 v[252:253], v[28:29], v[24:25]
	v_mul_f64 v[28:29], v[42:43], s[30:31]
	v_mul_f64 v[42:43], v[42:43], s[38:39]
	v_fma_f64 v[30:31], v[70:71], s[34:35], v[145:146]
	v_fma_f64 v[147:148], v[70:71], s[28:29], v[145:146]
	s_delay_alu instid0(VALU_DEP_4) | instskip(SKIP_1) | instid1(VALU_DEP_4)
	v_fma_f64 v[24:25], v[86:87], s[14:15], v[28:29]
	v_fma_f64 v[28:29], v[86:87], s[14:15], -v[28:29]
	v_add_f64 v[254:255], v[30:31], v[26:27]
	v_mul_f64 v[30:31], v[40:41], s[14:15]
	s_delay_alu instid0(VALU_DEP_4)
	v_add_f64 v[24:25], v[24:25], v[92:93]
	v_fma_f64 v[92:93], v[82:83], s[16:17], v[90:91]
	v_add_f64 v[28:29], v[28:29], v[119:120]
	v_fma_f64 v[90:91], v[82:83], s[16:17], -v[90:91]
	v_mul_f64 v[40:41], v[40:41], s[18:19]
	v_add_f64 v[22:23], v[147:148], v[22:23]
	v_mul_f64 v[148:149], v[194:195], s[44:45]
	v_mul_f64 v[146:147], v[198:199], s[34:35]
	v_fma_f64 v[26:27], v[88:89], s[24:25], v[30:31]
	v_fma_f64 v[30:31], v[88:89], s[30:31], v[30:31]
	v_add_f64 v[24:25], v[92:93], v[24:25]
	v_mul_f64 v[92:93], v[32:33], s[16:17]
	v_add_f64 v[28:29], v[90:91], v[28:29]
	v_add_f64 v[26:27], v[26:27], v[113:114]
	;; [unrolled: 1-line block ×3, first 2 shown]
	s_delay_alu instid0(VALU_DEP_4) | instskip(SKIP_1) | instid1(VALU_DEP_2)
	v_fma_f64 v[96:97], v[84:85], s[34:35], v[92:93]
	v_fma_f64 v[90:91], v[84:85], s[28:29], v[92:93]
	v_add_f64 v[26:27], v[96:97], v[26:27]
	v_mul_f64 v[96:97], v[80:81], s[44:45]
	s_delay_alu instid0(VALU_DEP_3) | instskip(SKIP_1) | instid1(VALU_DEP_3)
	v_add_f64 v[30:31], v[90:91], v[30:31]
	v_mul_f64 v[80:81], v[80:81], s[34:35]
	v_fma_f64 v[98:99], v[46:47], s[2:3], v[96:97]
	v_fma_f64 v[90:91], v[46:47], s[2:3], -v[96:97]
	v_mul_f64 v[96:97], v[194:195], s[30:31]
	s_delay_alu instid0(VALU_DEP_3) | instskip(SKIP_1) | instid1(VALU_DEP_4)
	v_add_f64 v[24:25], v[98:99], v[24:25]
	v_mul_f64 v[98:99], v[48:49], s[2:3]
	v_add_f64 v[28:29], v[90:91], v[28:29]
	v_mul_f64 v[48:49], v[48:49], s[16:17]
	s_delay_alu instid0(VALU_DEP_3) | instskip(SKIP_2) | instid1(VALU_DEP_3)
	v_fma_f64 v[100:101], v[78:79], s[26:27], v[98:99]
	v_fma_f64 v[90:91], v[78:79], s[44:45], v[98:99]
	v_add_f64 v[98:99], v[244:245], v[218:219]
	v_add_f64 v[26:27], v[100:101], v[26:27]
	v_mul_f64 v[100:101], v[38:39], s[38:39]
	s_delay_alu instid0(VALU_DEP_4) | instskip(SKIP_1) | instid1(VALU_DEP_3)
	v_add_f64 v[30:31], v[90:91], v[30:31]
	v_mul_f64 v[38:39], v[38:39], s[20:21]
	v_fma_f64 v[107:108], v[74:75], s[18:19], v[100:101]
	v_fma_f64 v[90:91], v[74:75], s[18:19], -v[100:101]
	s_delay_alu instid0(VALU_DEP_2) | instskip(SKIP_1) | instid1(VALU_DEP_3)
	v_add_f64 v[24:25], v[107:108], v[24:25]
	v_mul_f64 v[107:108], v[76:77], s[18:19]
	v_add_f64 v[28:29], v[90:91], v[28:29]
	v_mul_f64 v[76:77], v[76:77], s[12:13]
	s_delay_alu instid0(VALU_DEP_3) | instskip(SKIP_1) | instid1(VALU_DEP_2)
	v_fma_f64 v[109:110], v[36:37], s[36:37], v[107:108]
	v_fma_f64 v[90:91], v[36:37], s[38:39], v[107:108]
	v_add_f64 v[26:27], v[109:110], v[26:27]
	v_mul_f64 v[109:110], v[72:73], s[20:21]
	s_delay_alu instid0(VALU_DEP_3) | instskip(SKIP_1) | instid1(VALU_DEP_3)
	v_add_f64 v[30:31], v[90:91], v[30:31]
	v_mul_f64 v[72:73], v[72:73], s[30:31]
	v_fma_f64 v[90:91], v[50:51], s[12:13], -v[109:110]
	v_fma_f64 v[111:112], v[50:51], s[12:13], v[109:110]
	v_mul_f64 v[108:109], v[184:185], s[40:41]
	s_delay_alu instid0(VALU_DEP_3) | instskip(SKIP_1) | instid1(VALU_DEP_4)
	v_add_f64 v[28:29], v[90:91], v[28:29]
	v_fma_f64 v[90:91], v[86:87], s[18:19], v[42:43]
	v_add_f64 v[24:25], v[111:112], v[24:25]
	v_mul_f64 v[111:112], v[68:69], s[12:13]
	v_mul_f64 v[68:69], v[68:69], s[14:15]
	v_fma_f64 v[42:43], v[86:87], s[18:19], -v[42:43]
	v_add_f64 v[90:91], v[90:91], v[94:95]
	v_mul_f64 v[94:95], v[34:35], s[22:23]
	v_fma_f64 v[92:93], v[70:71], s[20:21], v[111:112]
	v_fma_f64 v[113:114], v[70:71], s[40:41], v[111:112]
	v_add_f64 v[42:43], v[42:43], v[121:122]
	v_mul_f64 v[120:121], v[190:191], s[38:39]
	v_mul_f64 v[110:111], v[196:197], s[22:23]
	v_fma_f64 v[34:35], v[82:83], s[8:9], v[94:95]
	v_add_f64 v[30:31], v[92:93], v[30:31]
	v_fma_f64 v[92:93], v[88:89], s[36:37], v[40:41]
	v_fma_f64 v[40:41], v[88:89], s[38:39], v[40:41]
	v_add_f64 v[26:27], v[113:114], v[26:27]
	v_mul_f64 v[112:113], v[188:189], s[38:39]
	v_add_f64 v[34:35], v[34:35], v[90:91]
	v_mul_f64 v[90:91], v[32:33], s[8:9]
	v_add_f64 v[92:93], v[92:93], v[115:116]
	v_add_f64 v[40:41], v[40:41], v[123:124]
	v_mul_f64 v[114:115], v[192:193], s[28:29]
	v_mul_f64 v[122:123], v[198:199], s[22:23]
	v_fma_f64 v[32:33], v[84:85], s[42:43], v[90:91]
	v_fma_f64 v[90:91], v[84:85], s[22:23], v[90:91]
	s_delay_alu instid0(VALU_DEP_2) | instskip(SKIP_2) | instid1(VALU_DEP_4)
	v_add_f64 v[32:33], v[32:33], v[92:93]
	v_fma_f64 v[92:93], v[46:47], s[16:17], v[80:81]
	v_fma_f64 v[80:81], v[46:47], s[16:17], -v[80:81]
	v_add_f64 v[40:41], v[90:91], v[40:41]
	v_fma_f64 v[46:47], v[46:47], s[12:13], -v[133:134]
	v_mul_f64 v[90:91], v[186:187], s[26:27]
	v_add_f64 v[34:35], v[92:93], v[34:35]
	v_fma_f64 v[92:93], v[78:79], s[28:29], v[48:49]
	v_fma_f64 v[48:49], v[78:79], s[34:35], v[48:49]
	s_delay_alu instid0(VALU_DEP_2) | instskip(SKIP_2) | instid1(VALU_DEP_4)
	v_add_f64 v[32:33], v[92:93], v[32:33]
	v_fma_f64 v[92:93], v[74:75], s[12:13], v[38:39]
	v_fma_f64 v[38:39], v[74:75], s[12:13], -v[38:39]
	v_add_f64 v[40:41], v[48:49], v[40:41]
	v_fma_f64 v[48:49], v[70:71], s[30:31], v[68:69]
	s_delay_alu instid0(VALU_DEP_4) | instskip(SKIP_1) | instid1(VALU_DEP_1)
	v_add_f64 v[34:35], v[92:93], v[34:35]
	v_fma_f64 v[92:93], v[36:37], s[40:41], v[76:77]
	v_add_f64 v[92:93], v[92:93], v[32:33]
	v_fma_f64 v[32:33], v[50:51], s[14:15], v[72:73]
	s_delay_alu instid0(VALU_DEP_1) | instskip(SKIP_2) | instid1(VALU_DEP_2)
	v_add_f64 v[32:33], v[32:33], v[34:35]
	v_fma_f64 v[34:35], v[70:71], s[24:25], v[68:69]
	v_fma_f64 v[68:69], v[82:83], s[14:15], -v[129:130]
	v_add_f64 v[34:35], v[34:35], v[92:93]
	v_fma_f64 v[92:93], v[82:83], s[8:9], -v[94:95]
	v_mul_f64 v[82:83], v[196:197], s[38:39]
	v_mul_f64 v[94:95], v[198:199], s[38:39]
	s_delay_alu instid0(VALU_DEP_3) | instskip(SKIP_1) | instid1(VALU_DEP_2)
	v_add_f64 v[42:43], v[92:93], v[42:43]
	v_mul_f64 v[92:93], v[190:191], s[42:43]
	v_add_f64 v[42:43], v[80:81], v[42:43]
	s_delay_alu instid0(VALU_DEP_1) | instskip(SKIP_3) | instid1(VALU_DEP_3)
	v_add_f64 v[38:39], v[38:39], v[42:43]
	v_fma_f64 v[42:43], v[36:37], s[20:21], v[76:77]
	v_fma_f64 v[36:37], v[36:37], s[22:23], v[139:140]
	v_add_f64 v[76:77], v[164:165], v[236:237]
	v_add_f64 v[42:43], v[42:43], v[40:41]
	v_fma_f64 v[40:41], v[50:51], s[14:15], -v[72:73]
	v_fma_f64 v[72:73], v[84:85], s[24:25], v[131:132]
	v_mul_f64 v[84:85], v[188:189], s[42:43]
	v_mul_f64 v[132:133], v[184:185], s[38:39]
	v_add_f64 v[42:43], v[48:49], v[42:43]
	v_add_f64 v[40:41], v[40:41], v[38:39]
	v_fma_f64 v[38:39], v[86:87], s[16:17], -v[125:126]
	v_fma_f64 v[48:49], v[88:89], s[28:29], v[127:128]
	ds_store_b128 v102, v[12:15] offset:32
	ds_store_b128 v102, v[248:251] offset:48
	;; [unrolled: 1-line block ×9, first 2 shown]
	ds_store_b128 v102, v[0:3]
	v_add_f64 v[12:13], v[246:247], -v[220:221]
	v_add_f64 v[14:15], v[176:177], -v[224:225]
	ds_store_b128 v102, v[16:19] offset:160
	ds_store_b128 v102, v[8:11] offset:176
	v_add_f64 v[22:23], v[174:175], v[222:223]
	v_add_f64 v[38:39], v[38:39], v[105:106]
	;; [unrolled: 1-line block ×3, first 2 shown]
	v_add_f64 v[16:17], v[244:245], -v[218:219]
	v_add_f64 v[18:19], v[174:175], -v[222:223]
	v_add_f64 v[104:105], v[246:247], v[220:221]
	v_add_f64 v[30:31], v[166:167], v[226:227]
	v_add_f64 v[42:43], v[153:154], v[230:231]
	v_add_f64 v[26:27], v[170:171], v[158:159]
	v_mul_f64 v[86:87], v[192:193], s[30:31]
	v_mul_f64 v[118:119], v[186:187], s[40:41]
	;; [unrolled: 1-line block ×3, first 2 shown]
	v_dual_mov_b32 v32, v158 :: v_dual_mov_b32 v33, v159
	v_dual_mov_b32 v34, v160 :: v_dual_mov_b32 v35, v161
	v_mul_f64 v[40:41], v[192:193], s[38:39]
	v_mul_f64 v[100:101], v[12:13], s[36:37]
	;; [unrolled: 1-line block ×6, first 2 shown]
	v_add_f64 v[38:39], v[68:69], v[38:39]
	v_add_f64 v[48:49], v[72:73], v[48:49]
	v_fma_f64 v[68:69], v[78:79], s[20:21], v[135:136]
	v_mul_f64 v[4:5], v[18:19], s[28:29]
	v_add_f64 v[72:73], v[155:156], v[232:233]
	v_mul_f64 v[128:129], v[16:17], s[28:29]
	v_mul_f64 v[88:89], v[18:19], s[20:21]
	;; [unrolled: 1-line block ×12, first 2 shown]
	v_dual_mov_b32 v78, v174 :: v_dual_mov_b32 v79, v175
	v_dual_mov_b32 v80, v176 :: v_dual_mov_b32 v81, v177
	v_mul_f64 v[202:203], v[14:15], s[38:39]
	v_mul_f64 v[204:205], v[104:105], s[2:3]
	v_fma_f64 v[0:1], v[98:99], s[18:19], v[100:101]
	scratch_store_b64 off, v[2:3], off offset:800 ; 8-byte Folded Spill
	v_fma_f64 v[2:3], v[22:23], s[16:17], v[2:3]
	v_add_f64 v[38:39], v[46:47], v[38:39]
	v_fma_f64 v[46:47], v[74:75], s[8:9], -v[137:138]
	v_add_f64 v[48:49], v[68:69], v[48:49]
	scratch_store_b64 off, v[4:5], off offset:824 ; 8-byte Folded Spill
	v_add_f64 v[68:69], v[172:173], v[160:161]
	v_mul_f64 v[74:75], v[14:15], s[20:21]
	v_mul_f64 v[136:137], v[188:189], s[24:25]
	;; [unrolled: 1-line block ×3, first 2 shown]
	v_fma_f64 v[6:7], v[22:23], s[8:9], v[130:131]
	v_fma_f64 v[10:11], v[22:23], s[14:15], v[158:159]
	;; [unrolled: 1-line block ×3, first 2 shown]
	v_fma_f64 v[202:203], v[22:23], s[18:19], -v[202:203]
	v_add_f64 v[0:1], v[240:241], v[0:1]
	v_add_f64 v[38:39], v[46:47], v[38:39]
	v_fma_f64 v[46:47], v[50:51], s[2:3], -v[141:142]
	v_fma_f64 v[50:51], v[70:71], s[26:27], v[143:144]
	v_add_f64 v[48:49], v[36:37], v[48:49]
	v_mul_f64 v[140:141], v[18:19], s[42:43]
	v_mul_f64 v[142:143], v[186:187], s[38:39]
	;; [unrolled: 1-line block ×4, first 2 shown]
	v_add_f64 v[0:1], v[2:3], v[0:1]
	v_add_f64 v[36:37], v[46:47], v[38:39]
	v_dual_mov_b32 v44, v162 :: v_dual_mov_b32 v45, v163
	v_add_f64 v[38:39], v[50:51], v[48:49]
	v_add_f64 v[48:49], v[168:169], v[228:229]
	v_dual_mov_b32 v46, v164 :: v_dual_mov_b32 v47, v165
	v_mul_f64 v[50:51], v[186:187], s[28:29]
	v_mul_f64 v[164:165], v[188:189], s[44:45]
	ds_store_b128 v102, v[36:39] offset:192
	v_mul_f64 v[102:103], v[16:17], s[36:37]
	v_add_f64 v[36:37], v[176:177], v[224:225]
	v_add_f64 v[38:39], v[162:163], v[234:235]
	v_mul_f64 v[176:177], v[194:195], s[38:39]
	s_delay_alu instid0(VALU_DEP_4) | instskip(NEXT) | instid1(VALU_DEP_4)
	v_fma_f64 v[2:3], v[104:105], s[18:19], -v[102:103]
	v_fma_f64 v[4:5], v[36:37], s[16:17], -v[4:5]
	;; [unrolled: 1-line block ×4, first 2 shown]
	v_mul_f64 v[206:207], v[36:37], s[18:19]
	v_add_f64 v[2:3], v[242:243], v[2:3]
	s_delay_alu instid0(VALU_DEP_2) | instskip(SKIP_1) | instid1(VALU_DEP_3)
	v_fma_f64 v[208:209], v[18:19], s[36:37], v[206:207]
	v_fma_f64 v[18:19], v[18:19], s[38:39], v[206:207]
	v_add_f64 v[2:3], v[4:5], v[2:3]
	v_mul_f64 v[4:5], v[184:185], s[24:25]
	scratch_store_b64 off, v[4:5], off offset:816 ; 8-byte Folded Spill
	v_fma_f64 v[4:5], v[30:31], s[14:15], v[4:5]
	s_delay_alu instid0(VALU_DEP_1) | instskip(SKIP_3) | instid1(VALU_DEP_1)
	v_add_f64 v[0:1], v[4:5], v[0:1]
	v_mul_f64 v[4:5], v[186:187], s[24:25]
	scratch_store_b64 off, v[4:5], off offset:848 ; 8-byte Folded Spill
	v_fma_f64 v[4:5], v[48:49], s[14:15], -v[4:5]
	v_add_f64 v[2:3], v[4:5], v[2:3]
	v_mul_f64 v[4:5], v[188:189], s[20:21]
	v_mul_f64 v[188:189], v[188:189], s[34:35]
	scratch_store_b64 off, v[4:5], off offset:840 ; 8-byte Folded Spill
	v_fma_f64 v[4:5], v[42:43], s[12:13], v[4:5]
	s_delay_alu instid0(VALU_DEP_1) | instskip(SKIP_3) | instid1(VALU_DEP_1)
	v_add_f64 v[0:1], v[4:5], v[0:1]
	v_mul_f64 v[4:5], v[190:191], s[20:21]
	scratch_store_b64 off, v[4:5], off offset:864 ; 8-byte Folded Spill
	v_fma_f64 v[4:5], v[72:73], s[12:13], -v[4:5]
	v_add_f64 v[2:3], v[4:5], v[2:3]
	v_mul_f64 v[4:5], v[192:193], s[22:23]
	;; [unrolled: 10-line block ×3, first 2 shown]
	scratch_store_b64 off, v[4:5], off offset:808 ; 8-byte Folded Spill
	v_fma_f64 v[4:5], v[26:27], s[2:3], v[4:5]
	s_delay_alu instid0(VALU_DEP_1) | instskip(SKIP_4) | instid1(VALU_DEP_1)
	v_add_f64 v[248:249], v[4:5], v[0:1]
	v_mul_f64 v[0:1], v[198:199], s[26:27]
	v_fma_f64 v[4:5], v[36:37], s[12:13], -v[88:89]
	scratch_store_b64 off, v[0:1], off offset:856 ; 8-byte Folded Spill
	v_fma_f64 v[0:1], v[68:69], s[2:3], -v[0:1]
	v_add_f64 v[250:251], v[0:1], v[2:3]
	v_fma_f64 v[0:1], v[98:99], s[16:17], v[126:127]
	v_fma_f64 v[2:3], v[22:23], s[12:13], v[74:75]
	s_delay_alu instid0(VALU_DEP_2) | instskip(NEXT) | instid1(VALU_DEP_1)
	v_add_f64 v[0:1], v[240:241], v[0:1]
	v_add_f64 v[0:1], v[2:3], v[0:1]
	v_fma_f64 v[2:3], v[104:105], s[16:17], -v[128:129]
	s_delay_alu instid0(VALU_DEP_1) | instskip(NEXT) | instid1(VALU_DEP_1)
	v_add_f64 v[2:3], v[242:243], v[2:3]
	v_add_f64 v[2:3], v[4:5], v[2:3]
	v_mul_f64 v[4:5], v[184:185], s[26:27]
	scratch_store_b64 off, v[4:5], off offset:880 ; 8-byte Folded Spill
	v_fma_f64 v[4:5], v[30:31], s[2:3], v[4:5]
	s_delay_alu instid0(VALU_DEP_1) | instskip(SKIP_1) | instid1(VALU_DEP_1)
	v_add_f64 v[0:1], v[4:5], v[0:1]
	v_fma_f64 v[4:5], v[48:49], s[2:3], -v[90:91]
	v_add_f64 v[2:3], v[4:5], v[2:3]
	v_fma_f64 v[4:5], v[42:43], s[8:9], v[84:85]
	s_delay_alu instid0(VALU_DEP_1) | instskip(SKIP_1) | instid1(VALU_DEP_1)
	v_add_f64 v[0:1], v[4:5], v[0:1]
	v_fma_f64 v[4:5], v[72:73], s[8:9], -v[92:93]
	v_add_f64 v[2:3], v[4:5], v[2:3]
	;; [unrolled: 5-line block ×3, first 2 shown]
	v_fma_f64 v[4:5], v[26:27], s[18:19], v[82:83]
	s_delay_alu instid0(VALU_DEP_1) | instskip(SKIP_2) | instid1(VALU_DEP_2)
	v_add_f64 v[252:253], v[4:5], v[0:1]
	v_fma_f64 v[0:1], v[68:69], s[18:19], -v[94:95]
	v_fma_f64 v[4:5], v[36:37], s[2:3], -v[116:117]
	v_add_f64 v[254:255], v[0:1], v[2:3]
	v_fma_f64 v[0:1], v[98:99], s[14:15], v[150:151]
	v_fma_f64 v[2:3], v[22:23], s[2:3], v[106:107]
	s_delay_alu instid0(VALU_DEP_2) | instskip(NEXT) | instid1(VALU_DEP_1)
	v_add_f64 v[0:1], v[240:241], v[0:1]
	v_add_f64 v[0:1], v[2:3], v[0:1]
	v_fma_f64 v[2:3], v[104:105], s[14:15], -v[238:239]
	s_delay_alu instid0(VALU_DEP_1) | instskip(NEXT) | instid1(VALU_DEP_1)
	v_add_f64 v[2:3], v[242:243], v[2:3]
	v_add_f64 v[2:3], v[4:5], v[2:3]
	v_fma_f64 v[4:5], v[30:31], s[12:13], v[108:109]
	s_delay_alu instid0(VALU_DEP_1) | instskip(SKIP_1) | instid1(VALU_DEP_1)
	v_add_f64 v[0:1], v[4:5], v[0:1]
	v_fma_f64 v[4:5], v[48:49], s[12:13], -v[118:119]
	v_add_f64 v[2:3], v[4:5], v[2:3]
	v_fma_f64 v[4:5], v[42:43], s[18:19], v[112:113]
	s_delay_alu instid0(VALU_DEP_1) | instskip(SKIP_1) | instid1(VALU_DEP_1)
	v_add_f64 v[0:1], v[4:5], v[0:1]
	v_fma_f64 v[4:5], v[72:73], s[18:19], -v[120:121]
	;; [unrolled: 5-line block ×4, first 2 shown]
	v_add_f64 v[2:3], v[4:5], v[2:3]
	v_fma_f64 v[4:5], v[98:99], s[12:13], v[20:21]
	s_delay_alu instid0(VALU_DEP_1) | instskip(NEXT) | instid1(VALU_DEP_1)
	v_add_f64 v[4:5], v[240:241], v[4:5]
	v_add_f64 v[4:5], v[6:7], v[4:5]
	v_fma_f64 v[6:7], v[104:105], s[12:13], -v[24:25]
	s_delay_alu instid0(VALU_DEP_1) | instskip(NEXT) | instid1(VALU_DEP_1)
	v_add_f64 v[6:7], v[242:243], v[6:7]
	v_add_f64 v[6:7], v[8:9], v[6:7]
	v_fma_f64 v[8:9], v[30:31], s[18:19], v[132:133]
	s_delay_alu instid0(VALU_DEP_1) | instskip(SKIP_1) | instid1(VALU_DEP_1)
	v_add_f64 v[4:5], v[8:9], v[4:5]
	v_fma_f64 v[8:9], v[48:49], s[18:19], -v[142:143]
	v_add_f64 v[6:7], v[8:9], v[6:7]
	v_fma_f64 v[8:9], v[42:43], s[14:15], v[136:137]
	s_delay_alu instid0(VALU_DEP_1) | instskip(SKIP_1) | instid1(VALU_DEP_1)
	v_add_f64 v[4:5], v[8:9], v[4:5]
	v_fma_f64 v[8:9], v[72:73], s[14:15], -v[144:145]
	;; [unrolled: 5-line block ×4, first 2 shown]
	v_add_f64 v[6:7], v[8:9], v[6:7]
	v_fma_f64 v[8:9], v[98:99], s[8:9], v[178:179]
	s_delay_alu instid0(VALU_DEP_1) | instskip(NEXT) | instid1(VALU_DEP_1)
	v_add_f64 v[8:9], v[240:241], v[8:9]
	v_add_f64 v[8:9], v[10:11], v[8:9]
	v_fma_f64 v[10:11], v[104:105], s[8:9], -v[180:181]
	s_delay_alu instid0(VALU_DEP_1) | instskip(NEXT) | instid1(VALU_DEP_1)
	v_add_f64 v[10:11], v[242:243], v[10:11]
	v_add_f64 v[10:11], v[160:161], v[10:11]
	v_mul_f64 v[160:161], v[184:185], s[28:29]
	v_mul_f64 v[184:185], v[184:185], s[22:23]
	s_delay_alu instid0(VALU_DEP_2) | instskip(NEXT) | instid1(VALU_DEP_1)
	v_fma_f64 v[162:163], v[30:31], s[16:17], v[160:161]
	v_add_f64 v[8:9], v[162:163], v[8:9]
	v_fma_f64 v[162:163], v[48:49], s[16:17], -v[50:51]
	s_delay_alu instid0(VALU_DEP_1) | instskip(SKIP_1) | instid1(VALU_DEP_1)
	v_add_f64 v[10:11], v[162:163], v[10:11]
	v_fma_f64 v[162:163], v[42:43], s[2:3], v[164:165]
	v_add_f64 v[8:9], v[162:163], v[8:9]
	v_fma_f64 v[162:163], v[72:73], s[2:3], -v[70:71]
	s_delay_alu instid0(VALU_DEP_1) | instskip(SKIP_1) | instid1(VALU_DEP_1)
	v_add_f64 v[10:11], v[162:163], v[10:11]
	v_fma_f64 v[162:163], v[38:39], s[18:19], v[40:41]
	v_add_f64 v[8:9], v[162:163], v[8:9]
	v_fma_f64 v[162:163], v[76:77], s[18:19], -v[176:177]
	s_delay_alu instid0(VALU_DEP_1) | instskip(SKIP_2) | instid1(VALU_DEP_2)
	v_add_f64 v[10:11], v[162:163], v[10:11]
	v_mul_f64 v[162:163], v[196:197], s[20:21]
	v_mul_f64 v[196:197], v[196:197], s[30:31]
	v_fma_f64 v[174:175], v[26:27], s[12:13], v[162:163]
	s_delay_alu instid0(VALU_DEP_1) | instskip(SKIP_1) | instid1(VALU_DEP_1)
	v_add_f64 v[8:9], v[174:175], v[8:9]
	v_mul_f64 v[174:175], v[198:199], s[20:21]
	v_fma_f64 v[200:201], v[68:69], s[12:13], -v[174:175]
	s_delay_alu instid0(VALU_DEP_1) | instskip(SKIP_1) | instid1(VALU_DEP_1)
	v_add_f64 v[10:11], v[200:201], v[10:11]
	v_mul_f64 v[200:201], v[12:13], s[26:27]
	v_fma_f64 v[12:13], v[98:99], s[2:3], v[200:201]
	v_fma_f64 v[200:201], v[98:99], s[2:3], -v[200:201]
	s_delay_alu instid0(VALU_DEP_2) | instskip(NEXT) | instid1(VALU_DEP_2)
	v_add_f64 v[12:13], v[240:241], v[12:13]
	v_add_f64 v[200:201], v[240:241], v[200:201]
	s_delay_alu instid0(VALU_DEP_2) | instskip(SKIP_2) | instid1(VALU_DEP_4)
	v_add_f64 v[12:13], v[14:15], v[12:13]
	v_fma_f64 v[14:15], v[16:17], s[44:45], v[204:205]
	v_fma_f64 v[16:17], v[16:17], s[26:27], v[204:205]
	v_add_f64 v[200:201], v[202:203], v[200:201]
	s_delay_alu instid0(VALU_DEP_3) | instskip(NEXT) | instid1(VALU_DEP_3)
	v_add_f64 v[14:15], v[242:243], v[14:15]
	v_add_f64 v[16:17], v[242:243], v[16:17]
	s_delay_alu instid0(VALU_DEP_2) | instskip(SKIP_1) | instid1(VALU_DEP_3)
	v_add_f64 v[14:15], v[208:209], v[14:15]
	v_fma_f64 v[208:209], v[30:31], s[8:9], v[184:185]
	v_add_f64 v[16:17], v[18:19], v[16:17]
	v_fma_f64 v[184:185], v[30:31], s[8:9], -v[184:185]
	s_delay_alu instid0(VALU_DEP_3) | instskip(SKIP_1) | instid1(VALU_DEP_3)
	v_add_f64 v[12:13], v[208:209], v[12:13]
	v_mul_f64 v[208:209], v[48:49], s[8:9]
	v_add_f64 v[184:185], v[184:185], v[200:201]
	s_delay_alu instid0(VALU_DEP_2) | instskip(SKIP_2) | instid1(VALU_DEP_3)
	v_fma_f64 v[210:211], v[186:187], s[42:43], v[208:209]
	v_fma_f64 v[18:19], v[186:187], s[22:23], v[208:209]
	v_fma_f64 v[186:187], v[42:43], s[16:17], -v[188:189]
	v_add_f64 v[14:15], v[210:211], v[14:15]
	v_fma_f64 v[210:211], v[42:43], s[16:17], v[188:189]
	s_delay_alu instid0(VALU_DEP_4) | instskip(NEXT) | instid1(VALU_DEP_4)
	v_add_f64 v[16:17], v[18:19], v[16:17]
	v_add_f64 v[184:185], v[186:187], v[184:185]
	v_fma_f64 v[186:187], v[38:39], s[12:13], -v[192:193]
	s_delay_alu instid0(VALU_DEP_4) | instskip(SKIP_1) | instid1(VALU_DEP_3)
	v_add_f64 v[12:13], v[210:211], v[12:13]
	v_mul_f64 v[210:211], v[72:73], s[16:17]
	v_add_f64 v[184:185], v[186:187], v[184:185]
	s_delay_alu instid0(VALU_DEP_2) | instskip(SKIP_1) | instid1(VALU_DEP_2)
	v_fma_f64 v[212:213], v[190:191], s[28:29], v[210:211]
	v_fma_f64 v[18:19], v[190:191], s[34:35], v[210:211]
	v_add_f64 v[14:15], v[212:213], v[14:15]
	v_fma_f64 v[212:213], v[38:39], s[12:13], v[192:193]
	s_delay_alu instid0(VALU_DEP_3) | instskip(NEXT) | instid1(VALU_DEP_2)
	v_add_f64 v[16:17], v[18:19], v[16:17]
	v_add_f64 v[12:13], v[212:213], v[12:13]
	v_mul_f64 v[212:213], v[76:77], s[12:13]
	s_delay_alu instid0(VALU_DEP_1) | instskip(SKIP_1) | instid1(VALU_DEP_2)
	v_fma_f64 v[214:215], v[194:195], s[40:41], v[212:213]
	v_fma_f64 v[18:19], v[194:195], s[20:21], v[212:213]
	v_add_f64 v[14:15], v[214:215], v[14:15]
	v_fma_f64 v[214:215], v[26:27], s[14:15], v[196:197]
	s_delay_alu instid0(VALU_DEP_3) | instskip(SKIP_1) | instid1(VALU_DEP_3)
	v_add_f64 v[18:19], v[18:19], v[16:17]
	v_fma_f64 v[16:17], v[26:27], s[14:15], -v[196:197]
	v_add_f64 v[12:13], v[214:215], v[12:13]
	v_mul_f64 v[214:215], v[68:69], s[14:15]
	s_delay_alu instid0(VALU_DEP_3) | instskip(NEXT) | instid1(VALU_DEP_2)
	v_add_f64 v[16:17], v[16:17], v[184:185]
	v_fma_f64 v[216:217], v[198:199], s[24:25], v[214:215]
	v_fma_f64 v[186:187], v[198:199], s[30:31], v[214:215]
	s_delay_alu instid0(VALU_DEP_2) | instskip(NEXT) | instid1(VALU_DEP_2)
	v_add_f64 v[14:15], v[216:217], v[14:15]
	v_add_f64 v[18:19], v[186:187], v[18:19]
	s_and_saveexec_b32 s1, vcc_lo
	s_cbranch_execz .LBB0_17
; %bb.16:
	v_add_f64 v[184:185], v[242:243], v[246:247]
	v_mul_f64 v[188:189], v[104:105], s[8:9]
	v_add_f64 v[186:187], v[240:241], v[244:245]
	v_mov_b32_e32 v190, v157
	s_delay_alu instid0(VALU_DEP_4) | instskip(NEXT) | instid1(VALU_DEP_4)
	v_add_f64 v[184:185], v[184:185], v[80:81]
	v_add_f64 v[180:181], v[180:181], v[188:189]
	v_mul_f64 v[188:189], v[98:99], s[8:9]
	v_add_f64 v[186:187], v[186:187], v[78:79]
	s_delay_alu instid0(VALU_DEP_4) | instskip(SKIP_1) | instid1(VALU_DEP_4)
	v_add_f64 v[184:185], v[184:185], v[168:169]
	v_mul_f64 v[168:169], v[22:23], s[14:15]
	v_add_f64 v[178:179], v[188:189], -v[178:179]
	v_mul_f64 v[188:189], v[104:105], s[12:13]
	v_add_f64 v[186:187], v[186:187], v[166:167]
	v_add_f64 v[184:185], v[184:185], v[155:156]
	v_add_f64 v[158:159], v[168:169], -v[158:159]
	v_mul_f64 v[168:169], v[48:49], s[16:17]
	v_add_f64 v[156:157], v[24:25], v[188:189]
	v_mul_f64 v[188:189], v[98:99], s[12:13]
	v_add_f64 v[186:187], v[186:187], v[153:154]
	scratch_load_b64 v[24:25], off, off offset:848 ; 8-byte Folded Reload
	v_add_f64 v[184:185], v[184:185], v[46:47]
	v_mul_f64 v[46:47], v[76:77], s[8:9]
	v_add_f64 v[168:169], v[50:51], v[168:169]
	v_add_f64 v[156:157], v[242:243], v[156:157]
	v_add_f64 v[154:155], v[188:189], -v[20:21]
	v_mul_f64 v[188:189], v[104:105], s[14:15]
	v_add_f64 v[186:187], v[186:187], v[44:45]
	scratch_load_b64 v[20:21], off, off offset:880 ; 8-byte Folded Reload
	v_add_f64 v[184:185], v[184:185], v[172:173]
	v_mul_f64 v[172:173], v[42:43], s[2:3]
	v_add_f64 v[154:155], v[240:241], v[154:155]
	v_add_f64 v[152:153], v[238:239], v[188:189]
	v_mul_f64 v[188:189], v[98:99], s[14:15]
	v_add_f64 v[186:187], v[186:187], v[170:171]
	v_mul_f64 v[170:171], v[30:31], s[16:17]
	v_add_f64 v[184:185], v[184:185], v[34:35]
	v_add_f64 v[164:165], v[172:173], -v[164:165]
	v_mul_f64 v[172:173], v[76:77], s[18:19]
	v_add_f64 v[152:153], v[242:243], v[152:153]
	v_add_f64 v[150:151], v[188:189], -v[150:151]
	v_mul_f64 v[188:189], v[104:105], s[16:17]
	v_mul_f64 v[104:105], v[104:105], s[18:19]
	v_add_f64 v[160:161], v[170:171], -v[160:161]
	v_mul_f64 v[170:171], v[72:73], s[2:3]
	v_add_f64 v[186:187], v[186:187], v[32:33]
	v_add_f64 v[172:173], v[176:177], v[172:173]
	;; [unrolled: 1-line block ×4, first 2 shown]
	v_mul_f64 v[188:189], v[98:99], s[16:17]
	v_mul_f64 v[98:99], v[98:99], s[18:19]
	v_add_f64 v[102:103], v[102:103], v[104:105]
	v_add_f64 v[104:105], v[240:241], v[178:179]
	;; [unrolled: 1-line block ×4, first 2 shown]
	v_add_f64 v[126:127], v[188:189], -v[126:127]
	v_add_f64 v[98:99], v[98:99], -v[100:101]
	v_add_f64 v[100:101], v[242:243], v[180:181]
	v_add_f64 v[178:179], v[242:243], v[102:103]
	;; [unrolled: 1-line block ×6, first 2 shown]
	v_mul_f64 v[98:99], v[36:37], s[14:15]
	s_delay_alu instid0(VALU_DEP_1) | instskip(NEXT) | instid1(VALU_DEP_1)
	v_add_f64 v[98:99], v[28:29], v[98:99]
	v_add_f64 v[98:99], v[98:99], v[100:101]
	;; [unrolled: 1-line block ×3, first 2 shown]
	v_mul_f64 v[104:105], v[38:39], s[18:19]
	v_mul_f64 v[158:159], v[68:69], s[12:13]
	s_delay_alu instid0(VALU_DEP_4) | instskip(NEXT) | instid1(VALU_DEP_4)
	v_add_f64 v[98:99], v[168:169], v[98:99]
	v_add_f64 v[100:101], v[160:161], v[100:101]
	s_delay_alu instid0(VALU_DEP_4) | instskip(SKIP_4) | instid1(VALU_DEP_4)
	v_add_f64 v[104:105], v[104:105], -v[40:41]
	v_mul_f64 v[160:161], v[26:27], s[12:13]
	v_add_f64 v[158:159], v[174:175], v[158:159]
	v_add_f64 v[98:99], v[170:171], v[98:99]
	;; [unrolled: 1-line block ×3, first 2 shown]
	v_add_f64 v[160:161], v[160:161], -v[162:163]
	s_delay_alu instid0(VALU_DEP_3) | instskip(NEXT) | instid1(VALU_DEP_3)
	v_add_f64 v[98:99], v[172:173], v[98:99]
	v_add_f64 v[104:105], v[104:105], v[100:101]
	s_delay_alu instid0(VALU_DEP_2) | instskip(NEXT) | instid1(VALU_DEP_2)
	v_add_f64 v[100:101], v[158:159], v[98:99]
	v_add_f64 v[98:99], v[160:161], v[104:105]
	;; [unrolled: 1-line block ×3, first 2 shown]
	v_mul_f64 v[102:103], v[36:37], s[8:9]
	v_mul_f64 v[104:105], v[22:23], s[8:9]
	v_add_f64 v[160:161], v[184:185], v[230:231]
	s_delay_alu instid0(VALU_DEP_3) | instskip(NEXT) | instid1(VALU_DEP_3)
	v_add_f64 v[102:103], v[140:141], v[102:103]
	v_add_f64 v[104:105], v[104:105], -v[130:131]
	v_mul_f64 v[130:131], v[48:49], s[18:19]
	v_mul_f64 v[140:141], v[30:31], s[18:19]
	s_delay_alu instid0(VALU_DEP_4) | instskip(NEXT) | instid1(VALU_DEP_4)
	v_add_f64 v[102:103], v[102:103], v[156:157]
	v_add_f64 v[104:105], v[104:105], v[154:155]
	s_delay_alu instid0(VALU_DEP_4) | instskip(NEXT) | instid1(VALU_DEP_4)
	v_add_f64 v[130:131], v[142:143], v[130:131]
	v_add_f64 v[132:133], v[140:141], -v[132:133]
	v_mul_f64 v[140:141], v[72:73], s[14:15]
	v_mul_f64 v[142:143], v[42:43], s[14:15]
	v_mov_b32_e32 v157, v190
	v_add_f64 v[102:103], v[130:131], v[102:103]
	v_add_f64 v[104:105], v[132:133], v[104:105]
	;; [unrolled: 1-line block ×3, first 2 shown]
	v_add_f64 v[136:137], v[142:143], -v[136:137]
	v_mul_f64 v[142:143], v[76:77], s[2:3]
	v_mul_f64 v[144:145], v[38:39], s[2:3]
	;; [unrolled: 1-line block ×4, first 2 shown]
	v_add_f64 v[102:103], v[140:141], v[102:103]
	v_add_f64 v[104:105], v[136:137], v[104:105]
	;; [unrolled: 1-line block ×3, first 2 shown]
	v_add_f64 v[138:139], v[144:145], -v[138:139]
	v_add_f64 v[130:131], v[146:147], v[130:131]
	v_add_f64 v[132:133], v[132:133], -v[134:135]
	s_delay_alu instid0(VALU_DEP_4) | instskip(NEXT) | instid1(VALU_DEP_4)
	v_add_f64 v[102:103], v[142:143], v[102:103]
	v_add_f64 v[134:135], v[138:139], v[104:105]
	s_delay_alu instid0(VALU_DEP_2) | instskip(NEXT) | instid1(VALU_DEP_2)
	v_add_f64 v[104:105], v[130:131], v[102:103]
	v_add_f64 v[102:103], v[132:133], v[134:135]
	v_mul_f64 v[134:135], v[36:37], s[2:3]
	v_add_f64 v[130:131], v[158:159], v[228:229]
	v_add_f64 v[132:133], v[160:161], v[226:227]
	s_delay_alu instid0(VALU_DEP_3) | instskip(SKIP_1) | instid1(VALU_DEP_2)
	v_add_f64 v[116:117], v[116:117], v[134:135]
	v_mul_f64 v[134:135], v[22:23], s[2:3]
	v_add_f64 v[116:117], v[116:117], v[152:153]
	s_delay_alu instid0(VALU_DEP_2) | instskip(SKIP_1) | instid1(VALU_DEP_2)
	v_add_f64 v[106:107], v[134:135], -v[106:107]
	v_mul_f64 v[134:135], v[48:49], s[12:13]
	v_add_f64 v[106:107], v[106:107], v[150:151]
	s_delay_alu instid0(VALU_DEP_2) | instskip(SKIP_1) | instid1(VALU_DEP_2)
	v_add_f64 v[118:119], v[118:119], v[134:135]
	v_mul_f64 v[134:135], v[30:31], s[12:13]
	v_add_f64 v[116:117], v[118:119], v[116:117]
	s_delay_alu instid0(VALU_DEP_2) | instskip(SKIP_1) | instid1(VALU_DEP_2)
	v_add_f64 v[108:109], v[134:135], -v[108:109]
	v_mul_f64 v[134:135], v[72:73], s[18:19]
	v_add_f64 v[106:107], v[108:109], v[106:107]
	s_delay_alu instid0(VALU_DEP_2) | instskip(SKIP_2) | instid1(VALU_DEP_3)
	v_add_f64 v[120:121], v[120:121], v[134:135]
	v_mul_f64 v[134:135], v[42:43], s[18:19]
	v_mul_f64 v[108:109], v[68:69], s[8:9]
	v_add_f64 v[116:117], v[120:121], v[116:117]
	s_delay_alu instid0(VALU_DEP_3) | instskip(SKIP_1) | instid1(VALU_DEP_4)
	v_add_f64 v[112:113], v[134:135], -v[112:113]
	v_mul_f64 v[134:135], v[76:77], s[16:17]
	v_add_f64 v[108:109], v[122:123], v[108:109]
	s_delay_alu instid0(VALU_DEP_3) | instskip(NEXT) | instid1(VALU_DEP_3)
	v_add_f64 v[106:107], v[112:113], v[106:107]
	v_add_f64 v[124:125], v[124:125], v[134:135]
	v_mul_f64 v[134:135], v[38:39], s[16:17]
	v_mul_f64 v[112:113], v[26:27], s[8:9]
	s_delay_alu instid0(VALU_DEP_2) | instskip(NEXT) | instid1(VALU_DEP_2)
	v_add_f64 v[114:115], v[134:135], -v[114:115]
	v_add_f64 v[110:111], v[112:113], -v[110:111]
	v_add_f64 v[112:113], v[124:125], v[116:117]
	s_delay_alu instid0(VALU_DEP_3) | instskip(SKIP_2) | instid1(VALU_DEP_4)
	v_add_f64 v[106:107], v[114:115], v[106:107]
	v_mul_f64 v[114:115], v[36:37], s[12:13]
	v_mul_f64 v[36:37], v[36:37], s[16:17]
	v_add_f64 v[108:109], v[108:109], v[112:113]
	v_add_f64 v[112:113], v[132:133], v[222:223]
	;; [unrolled: 1-line block ×4, first 2 shown]
	v_mul_f64 v[114:115], v[22:23], s[12:13]
	v_mul_f64 v[22:23], v[22:23], s[16:17]
	v_add_f64 v[110:111], v[130:131], v[224:225]
	s_delay_alu instid0(VALU_DEP_4) | instskip(NEXT) | instid1(VALU_DEP_4)
	v_add_f64 v[40:41], v[88:89], v[128:129]
	v_add_f64 v[78:79], v[114:115], -v[74:75]
	v_mul_f64 v[114:115], v[48:49], s[2:3]
	s_delay_alu instid0(VALU_DEP_1) | instskip(SKIP_2) | instid1(VALU_DEP_3)
	v_add_f64 v[90:91], v[90:91], v[114:115]
	v_mul_f64 v[114:115], v[30:31], s[2:3]
	v_mul_f64 v[30:31], v[30:31], s[14:15]
	v_add_f64 v[40:41], v[90:91], v[40:41]
	s_waitcnt vmcnt(0)
	s_delay_alu instid0(VALU_DEP_3) | instskip(SKIP_2) | instid1(VALU_DEP_1)
	v_add_f64 v[80:81], v[114:115], -v[20:21]
	scratch_load_b64 v[20:21], off, off offset:824 ; 8-byte Folded Reload
	v_mul_f64 v[114:115], v[72:73], s[8:9]
	v_add_f64 v[92:93], v[92:93], v[114:115]
	v_mul_f64 v[114:115], v[42:43], s[8:9]
	s_delay_alu instid0(VALU_DEP_1) | instskip(SKIP_1) | instid1(VALU_DEP_1)
	v_add_f64 v[84:85], v[114:115], -v[84:85]
	v_mul_f64 v[114:115], v[76:77], s[14:15]
	v_add_f64 v[96:97], v[96:97], v[114:115]
	v_mul_f64 v[114:115], v[38:39], s[14:15]
	s_delay_alu instid0(VALU_DEP_1) | instskip(SKIP_1) | instid1(VALU_DEP_1)
	v_add_f64 v[86:87], v[114:115], -v[86:87]
	v_mul_f64 v[114:115], v[68:69], s[18:19]
	v_add_f64 v[94:95], v[94:95], v[114:115]
	v_mul_f64 v[114:115], v[26:27], s[18:19]
	s_delay_alu instid0(VALU_DEP_1)
	v_add_f64 v[82:83], v[114:115], -v[82:83]
	s_waitcnt vmcnt(0)
	v_add_f64 v[32:33], v[20:21], v[36:37]
	scratch_load_b64 v[20:21], off, off offset:800 ; 8-byte Folded Reload
	v_mul_f64 v[36:37], v[42:43], s[12:13]
	v_add_f64 v[42:43], v[78:79], v[126:127]
	v_add_f64 v[32:33], v[32:33], v[178:179]
	s_delay_alu instid0(VALU_DEP_2) | instskip(NEXT) | instid1(VALU_DEP_1)
	v_add_f64 v[42:43], v[80:81], v[42:43]
	v_add_f64 v[34:35], v[84:85], v[42:43]
	s_delay_alu instid0(VALU_DEP_1) | instskip(SKIP_3) | instid1(VALU_DEP_2)
	v_add_f64 v[34:35], v[86:87], v[34:35]
	s_waitcnt vmcnt(0)
	v_add_f64 v[20:21], v[22:23], -v[20:21]
	v_mul_f64 v[22:23], v[48:49], s[14:15]
	v_add_f64 v[20:21], v[20:21], v[180:181]
	s_delay_alu instid0(VALU_DEP_2)
	v_add_f64 v[22:23], v[24:25], v[22:23]
	scratch_load_b64 v[24:25], off, off offset:816 ; 8-byte Folded Reload
	v_add_f64 v[22:23], v[22:23], v[32:33]
	v_mul_f64 v[32:33], v[38:39], s[8:9]
	s_waitcnt vmcnt(0)
	v_add_f64 v[28:29], v[30:31], -v[24:25]
	scratch_load_b64 v[24:25], off, off offset:864 ; 8-byte Folded Reload
	v_mul_f64 v[30:31], v[72:73], s[12:13]
	v_add_f64 v[20:21], v[28:29], v[20:21]
	v_add_f64 v[28:29], v[92:93], v[40:41]
	s_delay_alu instid0(VALU_DEP_1) | instskip(SKIP_1) | instid1(VALU_DEP_4)
	v_add_f64 v[28:29], v[96:97], v[28:29]
	s_waitcnt vmcnt(0)
	v_add_f64 v[30:31], v[24:25], v[30:31]
	scratch_load_b64 v[24:25], off, off offset:840 ; 8-byte Folded Reload
	v_add_f64 v[22:23], v[30:31], v[22:23]
	v_mul_f64 v[30:31], v[68:69], s[2:3]
	s_waitcnt vmcnt(0)
	v_add_f64 v[36:37], v[36:37], -v[24:25]
	scratch_load_b64 v[24:25], off, off offset:872 ; 8-byte Folded Reload
	v_add_f64 v[20:21], v[36:37], v[20:21]
	s_waitcnt vmcnt(0)
	v_add_f64 v[46:47], v[24:25], v[46:47]
	scratch_load_b64 v[24:25], off, off offset:832 ; 8-byte Folded Reload
	v_add_f64 v[36:37], v[46:47], v[22:23]
	v_mul_f64 v[22:23], v[26:27], s[2:3]
	s_waitcnt vmcnt(0)
	v_add_f64 v[32:33], v[32:33], -v[24:25]
	scratch_load_b64 v[24:25], off, off offset:856 ; 8-byte Folded Reload
	v_add_f64 v[32:33], v[32:33], v[20:21]
	v_add_f64 v[20:21], v[82:83], v[34:35]
	s_waitcnt vmcnt(0)
	v_add_f64 v[30:31], v[24:25], v[30:31]
	scratch_load_b64 v[24:25], off, off offset:808 ; 8-byte Folded Reload
	v_add_f64 v[26:27], v[30:31], v[36:37]
	v_add_f64 v[30:31], v[110:111], v[220:221]
	s_waitcnt vmcnt(0)
	v_add_f64 v[24:25], v[22:23], -v[24:25]
	v_add_f64 v[22:23], v[94:95], v[28:29]
	v_add_f64 v[28:29], v[112:113], v[218:219]
	s_delay_alu instid0(VALU_DEP_3)
	v_add_f64 v[24:25], v[24:25], v[32:33]
	s_clause 0x1
	scratch_load_b32 v32, off, off offset:12
	scratch_load_b32 v33, off, off offset:796
	s_waitcnt vmcnt(0)
	v_lshl_add_u32 v32, v33, 4, v32
	ds_store_b128 v32, v[252:255] offset:32
	ds_store_b128 v32, v[0:3] offset:48
	;; [unrolled: 1-line block ×11, first 2 shown]
	ds_store_b128 v32, v[28:31]
	ds_store_b128 v32, v[24:27] offset:192
.LBB0_17:
	s_or_b32 exec_lo, exec_lo, s1
	s_waitcnt lgkmcnt(0)
	s_waitcnt_vscnt null, 0x0
	s_barrier
	buffer_gl0_inv
	ds_load_b128 v[20:23], v182
	ds_load_b128 v[24:27], v182 offset:1456
	ds_load_b128 v[224:227], v182 offset:3120
	;; [unrolled: 1-line block ×13, first 2 shown]
	s_and_saveexec_b32 s1, s0
	s_cbranch_execz .LBB0_19
; %bb.18:
	ds_load_b128 v[248:251], v182 offset:2912
	ds_load_b128 v[252:255], v182 offset:6032
	;; [unrolled: 1-line block ×7, first 2 shown]
.LBB0_19:
	s_or_b32 exec_lo, exec_lo, s1
	s_clause 0x5
	scratch_load_b128 v[68:71], off, off offset:360
	scratch_load_b128 v[86:89], off, off offset:396
	scratch_load_b128 v[74:77], off, off offset:508
	scratch_load_b128 v[78:81], off, off offset:524
	scratch_load_b128 v[90:93], off, off offset:412
	scratch_load_b128 v[94:97], off, off offset:428
	s_mov_b32 s18, 0xe976ee23
	s_mov_b32 s2, 0x429ad128
	;; [unrolled: 1-line block ×20, first 2 shown]
	scratch_load_b128 v[82:85], off, off offset:476 ; 16-byte Folded Reload
	s_waitcnt vmcnt(6) lgkmcnt(11)
	v_mul_f64 v[46:47], v[70:71], v[226:227]
	v_mul_f64 v[48:49], v[70:71], v[224:225]
	scratch_load_b128 v[70:73], off, off offset:460 ; 16-byte Folded Reload
	v_fma_f64 v[46:47], v[68:69], v[224:225], v[46:47]
	v_fma_f64 v[48:49], v[68:69], v[226:227], -v[48:49]
	s_waitcnt vmcnt(0) lgkmcnt(9)
	v_mul_f64 v[50:51], v[72:73], v[222:223]
	v_mul_f64 v[68:69], v[72:73], v[220:221]
	s_waitcnt lgkmcnt(7)
	v_mul_f64 v[72:73], v[76:77], v[216:217]
	s_delay_alu instid0(VALU_DEP_3) | instskip(NEXT) | instid1(VALU_DEP_3)
	v_fma_f64 v[50:51], v[70:71], v[220:221], v[50:51]
	v_fma_f64 v[68:69], v[70:71], v[222:223], -v[68:69]
	v_mul_f64 v[70:71], v[76:77], v[218:219]
	s_delay_alu instid0(VALU_DEP_4) | instskip(SKIP_2) | instid1(VALU_DEP_3)
	v_fma_f64 v[72:73], v[74:75], v[218:219], -v[72:73]
	s_waitcnt lgkmcnt(5)
	v_mul_f64 v[76:77], v[80:81], v[116:117]
	v_fma_f64 v[70:71], v[74:75], v[216:217], v[70:71]
	v_mul_f64 v[74:75], v[80:81], v[118:119]
	s_delay_alu instid0(VALU_DEP_3) | instskip(SKIP_2) | instid1(VALU_DEP_3)
	v_fma_f64 v[76:77], v[78:79], v[118:119], -v[76:77]
	s_waitcnt lgkmcnt(3)
	v_mul_f64 v[80:81], v[84:85], v[112:113]
	v_fma_f64 v[74:75], v[78:79], v[116:117], v[74:75]
	v_mul_f64 v[78:79], v[84:85], v[114:115]
	s_delay_alu instid0(VALU_DEP_3) | instskip(SKIP_2) | instid1(VALU_DEP_3)
	v_fma_f64 v[80:81], v[82:83], v[114:115], -v[80:81]
	s_waitcnt lgkmcnt(1)
	v_mul_f64 v[84:85], v[88:89], v[108:109]
	v_fma_f64 v[78:79], v[82:83], v[112:113], v[78:79]
	v_mul_f64 v[82:83], v[88:89], v[110:111]
	s_delay_alu instid0(VALU_DEP_3)
	v_fma_f64 v[84:85], v[86:87], v[110:111], -v[84:85]
	v_mul_f64 v[88:89], v[92:93], v[104:105]
	v_add_f64 v[110:111], v[68:69], v[80:81]
	v_add_f64 v[112:113], v[72:73], v[76:77]
	v_fma_f64 v[82:83], v[86:87], v[108:109], v[82:83]
	v_mul_f64 v[86:87], v[92:93], v[106:107]
	v_fma_f64 v[88:89], v[90:91], v[106:107], -v[88:89]
	v_mul_f64 v[92:93], v[96:97], v[100:101]
	v_add_f64 v[106:107], v[70:71], v[74:75]
	v_add_f64 v[108:109], v[48:49], v[84:85]
	v_add_f64 v[48:49], v[48:49], -v[84:85]
	v_fma_f64 v[86:87], v[90:91], v[104:105], v[86:87]
	v_mul_f64 v[90:91], v[96:97], v[102:103]
	scratch_load_b128 v[96:99], off, off offset:492 ; 16-byte Folded Reload
	v_fma_f64 v[92:93], v[94:95], v[102:103], -v[92:93]
	v_add_f64 v[104:105], v[50:51], v[78:79]
	v_add_f64 v[84:85], v[108:109], -v[112:113]
	v_fma_f64 v[90:91], v[94:95], v[100:101], v[90:91]
	scratch_load_b128 v[100:103], off, off offset:380 ; 16-byte Folded Reload
	s_waitcnt vmcnt(1)
	v_mul_f64 v[94:95], v[98:99], v[42:43]
	s_delay_alu instid0(VALU_DEP_1) | instskip(SKIP_1) | instid1(VALU_DEP_1)
	v_fma_f64 v[94:95], v[96:97], v[40:41], v[94:95]
	v_mul_f64 v[40:41], v[98:99], v[40:41]
	v_fma_f64 v[40:41], v[96:97], v[42:43], -v[40:41]
	scratch_load_b128 v[96:99], off, off offset:540 ; 16-byte Folded Reload
	s_waitcnt vmcnt(0)
	v_mul_f64 v[42:43], v[98:99], v[38:39]
	s_delay_alu instid0(VALU_DEP_1) | instskip(SKIP_1) | instid1(VALU_DEP_2)
	v_fma_f64 v[42:43], v[96:97], v[36:37], v[42:43]
	v_mul_f64 v[36:37], v[98:99], v[36:37]
	v_add_f64 v[118:119], v[94:95], v[42:43]
	s_delay_alu instid0(VALU_DEP_2)
	v_fma_f64 v[36:37], v[96:97], v[38:39], -v[36:37]
	scratch_load_b128 v[96:99], off, off offset:444 ; 16-byte Folded Reload
	v_add_f64 v[42:43], v[42:43], -v[94:95]
	s_waitcnt vmcnt(0) lgkmcnt(0)
	s_barrier
	buffer_gl0_inv
	scratch_load_b32 v238, off, off offset:688 ; 4-byte Folded Reload
	v_add_f64 v[126:127], v[40:41], v[36:37]
	v_add_f64 v[36:37], v[36:37], -v[40:41]
	v_mul_f64 v[38:39], v[98:99], v[34:35]
	s_delay_alu instid0(VALU_DEP_1) | instskip(SKIP_1) | instid1(VALU_DEP_2)
	v_fma_f64 v[38:39], v[96:97], v[32:33], v[38:39]
	v_mul_f64 v[32:33], v[98:99], v[32:33]
	v_add_f64 v[116:117], v[90:91], v[38:39]
	s_delay_alu instid0(VALU_DEP_2)
	v_fma_f64 v[96:97], v[96:97], v[34:35], -v[32:33]
	v_mul_f64 v[32:33], v[102:103], v[30:31]
	v_mul_f64 v[34:35], v[102:103], v[28:29]
	v_add_f64 v[102:103], v[46:47], v[82:83]
	v_add_f64 v[46:47], v[46:47], -v[82:83]
	v_add_f64 v[38:39], v[90:91], -v[38:39]
	v_add_f64 v[82:83], v[112:113], -v[110:111]
	v_add_f64 v[124:125], v[92:93], v[96:97]
	v_fma_f64 v[98:99], v[100:101], v[28:29], v[32:33]
	v_fma_f64 v[100:101], v[100:101], v[30:31], -v[34:35]
	v_add_f64 v[28:29], v[104:105], v[102:103]
	v_add_f64 v[30:31], v[110:111], v[108:109]
	v_add_f64 v[94:95], v[126:127], -v[124:125]
	v_add_f64 v[114:115], v[86:87], v[98:99]
	v_add_f64 v[122:123], v[88:89], v[100:101]
	v_add_f64 v[40:41], v[88:89], -v[100:101]
	v_add_f64 v[28:29], v[106:107], v[28:29]
	v_add_f64 v[88:89], v[118:119], -v[116:117]
	v_add_f64 v[30:31], v[112:113], v[30:31]
	v_add_f64 v[32:33], v[116:117], v[114:115]
	v_add_f64 v[90:91], v[114:115], -v[118:119]
	v_add_f64 v[20:21], v[20:21], v[28:29]
	s_delay_alu instid0(VALU_DEP_4) | instskip(NEXT) | instid1(VALU_DEP_4)
	v_add_f64 v[22:23], v[22:23], v[30:31]
	v_add_f64 v[120:121], v[118:119], v[32:33]
	;; [unrolled: 1-line block ×3, first 2 shown]
	s_delay_alu instid0(VALU_DEP_1) | instskip(NEXT) | instid1(VALU_DEP_3)
	v_add_f64 v[128:129], v[126:127], v[32:33]
	v_add_f64 v[32:33], v[24:25], v[120:121]
	v_add_f64 v[24:25], v[50:51], -v[78:79]
	v_add_f64 v[50:51], v[68:69], -v[80:81]
	;; [unrolled: 1-line block ×9, first 2 shown]
	v_add_f64 v[34:35], v[26:27], v[128:129]
	v_add_f64 v[26:27], v[74:75], -v[70:71]
	v_add_f64 v[70:71], v[86:87], -v[98:99]
	;; [unrolled: 1-line block ×6, first 2 shown]
	v_mul_f64 v[78:79], v[78:79], s[22:23]
	v_add_f64 v[86:87], v[116:117], -v[114:115]
	v_add_f64 v[98:99], v[26:27], v[24:25]
	v_add_f64 v[100:101], v[26:27], -v[24:25]
	v_add_f64 v[24:25], v[24:25], -v[46:47]
	;; [unrolled: 1-line block ×3, first 2 shown]
	s_delay_alu instid0(VALU_DEP_4) | instskip(SKIP_3) | instid1(VALU_DEP_3)
	v_add_f64 v[46:47], v[98:99], v[46:47]
	v_add_f64 v[98:99], v[68:69], v[50:51]
	v_add_f64 v[50:51], v[50:51], -v[48:49]
	v_add_f64 v[68:69], v[48:49], -v[68:69]
	v_add_f64 v[48:49], v[98:99], v[48:49]
	v_add_f64 v[98:99], v[42:43], v[38:39]
	v_add_f64 v[38:39], v[38:39], -v[70:71]
	v_add_f64 v[42:43], v[70:71], -v[42:43]
	s_delay_alu instid0(VALU_DEP_3) | instskip(SKIP_3) | instid1(VALU_DEP_3)
	v_add_f64 v[70:71], v[98:99], v[70:71]
	v_add_f64 v[98:99], v[36:37], v[72:73]
	v_add_f64 v[72:73], v[72:73], -v[40:41]
	v_add_f64 v[36:37], v[40:41], -v[36:37]
	v_add_f64 v[40:41], v[98:99], v[40:41]
	v_mul_f64 v[98:99], v[100:101], s[18:19]
	v_mul_f64 v[100:101], v[24:25], s[2:3]
	s_delay_alu instid0(VALU_DEP_2) | instskip(NEXT) | instid1(VALU_DEP_2)
	v_fma_f64 v[24:25], v[24:25], s[2:3], -v[98:99]
	v_fma_f64 v[100:101], v[26:27], s[12:13], -v[100:101]
	v_fma_f64 v[26:27], v[26:27], s[8:9], v[98:99]
	v_mul_f64 v[98:99], v[102:103], s[18:19]
	v_mul_f64 v[102:103], v[50:51], s[2:3]
	v_fma_f64 v[24:25], v[46:47], s[24:25], v[24:25]
	s_delay_alu instid0(VALU_DEP_3) | instskip(NEXT) | instid1(VALU_DEP_3)
	v_fma_f64 v[50:51], v[50:51], s[2:3], -v[98:99]
	v_fma_f64 v[102:103], v[68:69], s[12:13], -v[102:103]
	v_fma_f64 v[68:69], v[68:69], s[8:9], v[98:99]
	v_mul_f64 v[98:99], v[76:77], s[20:21]
	v_fma_f64 v[76:77], v[76:77], s[20:21], v[78:79]
	s_delay_alu instid0(VALU_DEP_2) | instskip(SKIP_3) | instid1(VALU_DEP_1)
	v_fma_f64 v[98:99], v[74:75], s[14:15], -v[98:99]
	v_fma_f64 v[74:75], v[74:75], s[16:17], -v[78:79]
	v_mul_f64 v[78:79], v[84:85], s[22:23]
	v_mul_f64 v[84:85], v[82:83], s[20:21]
	v_fma_f64 v[84:85], v[80:81], s[14:15], -v[84:85]
	s_delay_alu instid0(VALU_DEP_3) | instskip(SKIP_3) | instid1(VALU_DEP_2)
	v_fma_f64 v[80:81], v[80:81], s[16:17], -v[78:79]
	v_fma_f64 v[78:79], v[82:83], s[20:21], v[78:79]
	v_mul_f64 v[82:83], v[104:105], s[18:19]
	v_mul_f64 v[104:105], v[38:39], s[2:3]
	v_fma_f64 v[38:39], v[38:39], s[2:3], -v[82:83]
	s_delay_alu instid0(VALU_DEP_2) | instskip(SKIP_3) | instid1(VALU_DEP_4)
	v_fma_f64 v[104:105], v[42:43], s[12:13], -v[104:105]
	v_fma_f64 v[42:43], v[42:43], s[8:9], v[82:83]
	v_mul_f64 v[82:83], v[106:107], s[18:19]
	v_mul_f64 v[106:107], v[72:73], s[2:3]
	v_fma_f64 v[104:105], v[70:71], s[24:25], v[104:105]
	s_delay_alu instid0(VALU_DEP_4) | instskip(NEXT) | instid1(VALU_DEP_4)
	v_fma_f64 v[108:109], v[70:71], s[24:25], v[42:43]
	v_fma_f64 v[72:73], v[72:73], s[2:3], -v[82:83]
	s_delay_alu instid0(VALU_DEP_4) | instskip(SKIP_3) | instid1(VALU_DEP_4)
	v_fma_f64 v[106:107], v[36:37], s[12:13], -v[106:107]
	v_fma_f64 v[36:37], v[36:37], s[8:9], v[82:83]
	v_mul_f64 v[82:83], v[90:91], s[22:23]
	v_mul_f64 v[90:91], v[88:89], s[20:21]
	v_fma_f64 v[106:107], v[40:41], s[24:25], v[106:107]
	s_delay_alu instid0(VALU_DEP_4) | instskip(NEXT) | instid1(VALU_DEP_3)
	v_fma_f64 v[110:111], v[40:41], s[24:25], v[36:37]
	v_fma_f64 v[90:91], v[86:87], s[14:15], -v[90:91]
	v_fma_f64 v[86:87], v[86:87], s[16:17], -v[82:83]
	v_fma_f64 v[82:83], v[88:89], s[20:21], v[82:83]
	v_mul_f64 v[88:89], v[96:97], s[22:23]
	v_mul_f64 v[96:97], v[94:95], s[20:21]
	s_delay_alu instid0(VALU_DEP_1) | instskip(NEXT) | instid1(VALU_DEP_3)
	v_fma_f64 v[96:97], v[92:93], s[14:15], -v[96:97]
	v_fma_f64 v[92:93], v[92:93], s[16:17], -v[88:89]
	v_fma_f64 v[88:89], v[94:95], s[20:21], v[88:89]
	v_fma_f64 v[94:95], v[46:47], s[24:25], v[100:101]
	;; [unrolled: 1-line block ×8, first 2 shown]
	v_add_f64 v[48:49], v[98:99], v[26:27]
	v_add_f64 v[68:69], v[74:75], v[26:27]
	;; [unrolled: 1-line block ×3, first 2 shown]
	v_fma_f64 v[26:27], v[30:31], s[26:27], v[22:23]
	v_fma_f64 v[98:99], v[40:41], s[24:25], v[72:73]
	v_add_f64 v[96:97], v[96:97], v[28:29]
	v_add_f64 v[116:117], v[88:89], v[28:29]
	;; [unrolled: 1-line block ×5, first 2 shown]
	v_add_f64 v[72:73], v[74:75], -v[102:103]
	v_add_f64 v[76:77], v[84:85], v[26:27]
	v_add_f64 v[80:81], v[80:81], v[26:27]
	;; [unrolled: 1-line block ×3, first 2 shown]
	v_fma_f64 v[26:27], v[120:121], s[26:27], v[32:33]
	v_fma_f64 v[84:85], v[70:71], s[24:25], v[38:39]
	v_add_f64 v[29:30], v[24:25], v[76:77]
	v_add_f64 v[42:43], v[80:81], -v[94:95]
	v_add_f64 v[70:71], v[78:79], -v[100:101]
	v_add_f64 v[90:91], v[90:91], v[26:27]
	v_add_f64 v[112:113], v[86:87], v[26:27]
	v_add_f64 v[114:115], v[82:83], v[26:27]
	v_add_f64 v[27:28], v[48:49], -v[46:47]
	v_add_f64 v[46:47], v[68:69], -v[50:51]
	v_add_f64 v[68:69], v[102:103], v[74:75]
	v_add_f64 v[38:39], v[76:77], -v[24:25]
	v_add_f64 v[48:49], v[94:95], v[80:81]
	v_add_f64 v[74:75], v[100:101], v[78:79]
	s_waitcnt vmcnt(0)
	ds_store_b128 v238, v[20:23]
	ds_store_b128 v238, v[68:71] offset:208
	ds_store_b128 v238, v[40:43] offset:416
	;; [unrolled: 1-line block ×6, first 2 shown]
	scratch_load_b32 v238, off, off offset:556 ; 4-byte Folded Reload
	v_add_f64 v[76:77], v[90:91], -v[98:99]
	v_add_f64 v[80:81], v[98:99], v[90:91]
	v_add_f64 v[88:89], v[110:111], v[114:115]
	v_add_f64 v[90:91], v[116:117], -v[108:109]
	v_add_f64 v[78:79], v[84:85], v[96:97]
	v_add_f64 v[82:83], v[96:97], -v[84:85]
	;; [unrolled: 2-line block ×3, first 2 shown]
	v_add_f64 v[92:93], v[112:113], -v[106:107]
	v_add_f64 v[94:95], v[104:105], v[118:119]
	v_add_f64 v[96:97], v[114:115], -v[110:111]
	v_add_f64 v[98:99], v[108:109], v[116:117]
	v_add_nc_u32_e32 v26, 0xb60, v182
	v_add_nc_u32_e32 v25, 0x1110, v182
	;; [unrolled: 1-line block ×3, first 2 shown]
	s_waitcnt vmcnt(0)
	ds_store_b128 v238, v[32:35]
	ds_store_b128 v238, v[88:91] offset:208
	ds_store_b128 v238, v[84:87] offset:416
	;; [unrolled: 1-line block ×6, first 2 shown]
	s_mov_b32 s1, exec_lo
	scratch_load_b32 v43, off, off offset:12 ; 4-byte Folded Reload
	s_and_b32 s0, s1, s0
	s_delay_alu instid0(SALU_CYCLE_1)
	s_mov_b32 exec_lo, s0
	s_cbranch_execz .LBB0_21
; %bb.20:
	s_clause 0x4
	scratch_load_b128 v[76:79], off, off offset:724
	scratch_load_b128 v[80:83], off, off offset:740
	;; [unrolled: 1-line block ×5, first 2 shown]
	s_waitcnt vmcnt(4)
	v_mul_f64 v[20:21], v[78:79], v[16:17]
	s_waitcnt vmcnt(3)
	v_mul_f64 v[27:28], v[82:83], v[12:13]
	v_mul_f64 v[37:38], v[82:83], v[14:15]
	scratch_load_b128 v[82:85], off, off offset:756 ; 16-byte Folded Reload
	s_waitcnt vmcnt(3)
	v_mul_f64 v[22:23], v[70:71], v[252:253]
	s_waitcnt vmcnt(2)
	v_mul_f64 v[29:30], v[74:75], v[0:1]
	v_mul_f64 v[31:32], v[70:71], v[254:255]
	;; [unrolled: 1-line block ×4, first 2 shown]
	s_waitcnt vmcnt(1)
	v_mul_f64 v[39:40], v[88:89], v[10:11]
	v_mul_f64 v[48:49], v[88:89], v[8:9]
	v_fma_f64 v[18:19], v[76:77], v[18:19], -v[20:21]
	v_fma_f64 v[14:15], v[80:81], v[14:15], -v[27:28]
	v_fma_f64 v[12:13], v[80:81], v[12:13], v[37:38]
	v_fma_f64 v[20:21], v[68:69], v[254:255], -v[22:23]
	v_fma_f64 v[2:3], v[72:73], v[2:3], -v[29:30]
	v_fma_f64 v[22:23], v[68:69], v[252:253], v[31:32]
	v_fma_f64 v[16:17], v[76:77], v[16:17], v[33:34]
	;; [unrolled: 1-line block ×4, first 2 shown]
	v_fma_f64 v[10:11], v[86:87], v[10:11], -v[48:49]
	v_add_f64 v[27:28], v[20:21], v[18:19]
	v_add_f64 v[29:30], v[2:3], v[14:15]
	v_add_f64 v[2:3], v[2:3], -v[14:15]
	v_add_f64 v[31:32], v[22:23], v[16:17]
	v_add_f64 v[33:34], v[0:1], v[12:13]
	v_add_f64 v[0:1], v[0:1], -v[12:13]
	s_delay_alu instid0(VALU_DEP_2) | instskip(SKIP_3) | instid1(VALU_DEP_2)
	v_add_f64 v[14:15], v[33:34], v[31:32]
	s_waitcnt vmcnt(0)
	v_mul_f64 v[41:42], v[84:85], v[6:7]
	v_mul_f64 v[46:47], v[84:85], v[4:5]
	v_fma_f64 v[4:5], v[82:83], v[4:5], v[41:42]
	s_delay_alu instid0(VALU_DEP_2) | instskip(NEXT) | instid1(VALU_DEP_2)
	v_fma_f64 v[6:7], v[82:83], v[6:7], -v[46:47]
	v_add_f64 v[35:36], v[8:9], -v[4:5]
	s_delay_alu instid0(VALU_DEP_2)
	v_add_f64 v[12:13], v[6:7], v[10:11]
	v_add_f64 v[4:5], v[4:5], v[8:9]
	v_add_f64 v[8:9], v[22:23], -v[16:17]
	v_add_f64 v[16:17], v[29:30], v[27:28]
	v_add_f64 v[6:7], v[10:11], -v[6:7]
	v_add_f64 v[10:11], v[20:21], -v[18:19]
	;; [unrolled: 1-line block ×6, first 2 shown]
	v_add_f64 v[16:17], v[12:13], v[16:17]
	v_add_f64 v[12:13], v[12:13], -v[29:30]
	v_add_f64 v[39:40], v[6:7], -v[2:3]
	v_add_f64 v[14:15], v[4:5], v[14:15]
	v_add_f64 v[4:5], v[4:5], -v[33:34]
	v_add_f64 v[41:42], v[2:3], -v[10:11]
	;; [unrolled: 1-line block ×3, first 2 shown]
	v_add_f64 v[35:36], v[35:36], v[0:1]
	v_add_f64 v[48:49], v[6:7], v[2:3]
	v_add_f64 v[27:28], v[29:30], -v[27:28]
	v_add_f64 v[31:32], v[33:34], -v[31:32]
	;; [unrolled: 1-line block ×3, first 2 shown]
	v_mul_f64 v[18:19], v[18:19], s[18:19]
	v_mul_f64 v[20:21], v[20:21], s[22:23]
	;; [unrolled: 1-line block ×4, first 2 shown]
	v_add_f64 v[2:3], v[250:251], v[16:17]
	v_mul_f64 v[29:30], v[12:13], s[20:21]
	v_mul_f64 v[39:40], v[39:40], s[18:19]
	v_add_f64 v[0:1], v[248:249], v[14:15]
	v_mul_f64 v[33:34], v[4:5], s[20:21]
	v_mul_f64 v[68:69], v[41:42], s[2:3]
	v_add_f64 v[8:9], v[35:36], v[8:9]
	v_add_f64 v[10:11], v[48:49], v[10:11]
	v_fma_f64 v[35:36], v[46:47], s[8:9], v[18:19]
	v_fma_f64 v[12:13], v[12:13], s[20:21], v[20:21]
	;; [unrolled: 1-line block ×3, first 2 shown]
	v_fma_f64 v[46:47], v[46:47], s[12:13], -v[50:51]
	v_fma_f64 v[18:19], v[37:38], s[2:3], -v[18:19]
	v_fma_f64 v[16:17], v[16:17], s[26:27], v[2:3]
	v_fma_f64 v[20:21], v[27:28], s[16:17], -v[20:21]
	v_fma_f64 v[27:28], v[27:28], s[14:15], -v[29:30]
	;; [unrolled: 1-line block ×3, first 2 shown]
	v_fma_f64 v[14:15], v[14:15], s[26:27], v[0:1]
	v_fma_f64 v[22:23], v[31:32], s[16:17], -v[22:23]
	v_fma_f64 v[31:32], v[31:32], s[14:15], -v[33:34]
	v_fma_f64 v[29:30], v[6:7], s[8:9], v[39:40]
	v_fma_f64 v[6:7], v[6:7], s[12:13], -v[68:69]
	v_fma_f64 v[33:34], v[8:9], s[24:25], v[35:36]
	v_fma_f64 v[35:36], v[8:9], s[24:25], v[46:47]
	;; [unrolled: 1-line block ×3, first 2 shown]
	v_add_f64 v[12:13], v[12:13], v[16:17]
	v_add_f64 v[20:21], v[20:21], v[16:17]
	;; [unrolled: 1-line block ×3, first 2 shown]
	v_fma_f64 v[37:38], v[10:11], s[24:25], v[37:38]
	v_add_f64 v[4:5], v[4:5], v[14:15]
	v_add_f64 v[46:47], v[22:23], v[14:15]
	;; [unrolled: 1-line block ×3, first 2 shown]
	v_fma_f64 v[39:40], v[10:11], s[24:25], v[29:30]
	v_fma_f64 v[41:42], v[10:11], s[24:25], v[6:7]
	v_add_f64 v[6:7], v[33:34], v[12:13]
	v_add_f64 v[29:30], v[12:13], -v[33:34]
	v_add_f64 v[14:15], v[16:17], -v[8:9]
	v_add_f64 v[18:19], v[8:9], v[16:17]
	v_add_f64 v[10:11], v[35:36], v[20:21]
	v_add_f64 v[22:23], v[20:21], -v[35:36]
	v_add_f64 v[16:17], v[31:32], -v[37:38]
	v_add_f64 v[12:13], v[37:38], v[31:32]
	scratch_load_b32 v31, off, off offset:376 ; 4-byte Folded Reload
	v_add_f64 v[27:28], v[39:40], v[4:5]
	v_add_f64 v[20:21], v[41:42], v[46:47]
	v_add_f64 v[8:9], v[46:47], -v[41:42]
	v_add_f64 v[4:5], v[4:5], -v[39:40]
	s_waitcnt vmcnt(0)
	v_lshl_add_u32 v31, v31, 4, v43
	ds_store_b128 v31, v[0:3] offset:20384
	ds_store_b128 v31, v[27:30] offset:20592
	;; [unrolled: 1-line block ×7, first 2 shown]
.LBB0_21:
	s_or_b32 exec_lo, exec_lo, s1
	s_waitcnt vmcnt(0) lgkmcnt(0)
	s_barrier
	buffer_gl0_inv
	ds_load_b128 v[0:3], v182 offset:4368
	ds_load_b128 v[4:7], v182 offset:2912
	s_mov_b32 s8, 0x134454ff
	s_mov_b32 s9, 0xbfee6f0e
	;; [unrolled: 1-line block ×10, first 2 shown]
	s_waitcnt lgkmcnt(1)
	v_mul_f64 v[8:9], v[66:67], v[2:3]
	s_delay_alu instid0(VALU_DEP_1) | instskip(SKIP_1) | instid1(VALU_DEP_1)
	v_fma_f64 v[27:28], v[64:65], v[0:1], v[8:9]
	v_mul_f64 v[0:1], v[66:67], v[0:1]
	v_fma_f64 v[29:30], v[64:65], v[2:3], -v[0:1]
	ds_load_b128 v[0:3], v182 offset:5824
	ds_load_b128 v[8:11], v182 offset:7280
	s_waitcnt lgkmcnt(1)
	v_mul_f64 v[12:13], v[66:67], v[2:3]
	s_delay_alu instid0(VALU_DEP_1) | instskip(SKIP_1) | instid1(VALU_DEP_1)
	v_fma_f64 v[39:40], v[64:65], v[0:1], v[12:13]
	v_mul_f64 v[0:1], v[66:67], v[0:1]
	v_fma_f64 v[41:42], v[64:65], v[2:3], -v[0:1]
	ds_load_b128 v[0:3], v182 offset:8736
	ds_load_b128 v[12:15], v182 offset:10192
	s_waitcnt lgkmcnt(1)
	v_mul_f64 v[16:17], v[62:63], v[2:3]
	s_delay_alu instid0(VALU_DEP_1) | instskip(SKIP_1) | instid1(VALU_DEP_1)
	v_fma_f64 v[31:32], v[60:61], v[0:1], v[16:17]
	v_mul_f64 v[0:1], v[62:63], v[0:1]
	v_fma_f64 v[33:34], v[60:61], v[2:3], -v[0:1]
	s_waitcnt lgkmcnt(0)
	v_mul_f64 v[0:1], v[62:63], v[14:15]
	s_delay_alu instid0(VALU_DEP_1) | instskip(SKIP_1) | instid1(VALU_DEP_1)
	v_fma_f64 v[46:47], v[60:61], v[12:13], v[0:1]
	v_mul_f64 v[0:1], v[62:63], v[12:13]
	v_fma_f64 v[48:49], v[60:61], v[14:15], -v[0:1]
	ds_load_b128 v[0:3], v182 offset:13104
	ds_load_b128 v[12:15], v182 offset:11648
	s_waitcnt lgkmcnt(1)
	v_mul_f64 v[16:17], v[58:59], v[2:3]
	s_delay_alu instid0(VALU_DEP_1) | instskip(SKIP_1) | instid1(VALU_DEP_2)
	v_fma_f64 v[35:36], v[56:57], v[0:1], v[16:17]
	v_mul_f64 v[0:1], v[58:59], v[0:1]
	v_add_f64 v[84:85], v[31:32], -v[35:36]
	s_delay_alu instid0(VALU_DEP_2)
	v_fma_f64 v[37:38], v[56:57], v[2:3], -v[0:1]
	ds_load_b128 v[0:3], v182 offset:14560
	ds_load_b128 v[16:19], v182 offset:16016
	s_waitcnt lgkmcnt(1)
	v_mul_f64 v[20:21], v[58:59], v[2:3]
	v_add_f64 v[80:81], v[33:34], -v[37:38]
	s_delay_alu instid0(VALU_DEP_2) | instskip(SKIP_1) | instid1(VALU_DEP_1)
	v_fma_f64 v[50:51], v[56:57], v[0:1], v[20:21]
	v_mul_f64 v[0:1], v[58:59], v[0:1]
	v_fma_f64 v[56:57], v[56:57], v[2:3], -v[0:1]
	ds_load_b128 v[0:3], v182 offset:17472
	ds_load_b128 v[20:23], v182 offset:18928
	s_waitcnt lgkmcnt(1)
	v_mul_f64 v[58:59], v[54:55], v[2:3]
	s_delay_alu instid0(VALU_DEP_1) | instskip(SKIP_1) | instid1(VALU_DEP_2)
	v_fma_f64 v[58:59], v[52:53], v[0:1], v[58:59]
	v_mul_f64 v[0:1], v[54:55], v[0:1]
	v_add_f64 v[82:83], v[27:28], -v[58:59]
	s_delay_alu instid0(VALU_DEP_2) | instskip(SKIP_2) | instid1(VALU_DEP_1)
	v_fma_f64 v[60:61], v[52:53], v[2:3], -v[0:1]
	s_waitcnt lgkmcnt(0)
	v_mul_f64 v[0:1], v[54:55], v[22:23]
	v_fma_f64 v[62:63], v[52:53], v[20:21], v[0:1]
	v_mul_f64 v[0:1], v[54:55], v[20:21]
	s_delay_alu instid0(VALU_DEP_4) | instskip(NEXT) | instid1(VALU_DEP_2)
	v_add_f64 v[54:55], v[29:30], -v[60:61]
	v_fma_f64 v[52:53], v[52:53], v[22:23], -v[0:1]
	scratch_load_b128 v[20:23], off, off offset:328 ; 16-byte Folded Reload
	s_waitcnt vmcnt(0)
	v_mul_f64 v[0:1], v[22:23], v[10:11]
	s_delay_alu instid0(VALU_DEP_1) | instskip(SKIP_1) | instid1(VALU_DEP_1)
	v_fma_f64 v[64:65], v[20:21], v[8:9], v[0:1]
	v_mul_f64 v[0:1], v[22:23], v[8:9]
	v_fma_f64 v[66:67], v[20:21], v[10:11], -v[0:1]
	scratch_load_b128 v[8:11], off, off offset:296 ; 16-byte Folded Reload
	s_waitcnt vmcnt(0)
	v_mul_f64 v[0:1], v[10:11], v[14:15]
	s_delay_alu instid0(VALU_DEP_1) | instskip(SKIP_1) | instid1(VALU_DEP_1)
	v_fma_f64 v[68:69], v[8:9], v[12:13], v[0:1]
	v_mul_f64 v[0:1], v[10:11], v[12:13]
	v_fma_f64 v[70:71], v[8:9], v[14:15], -v[0:1]
	scratch_load_b128 v[8:11], off, off offset:344 ; 16-byte Folded Reload
	s_waitcnt vmcnt(0)
	v_mul_f64 v[0:1], v[10:11], v[18:19]
	s_delay_alu instid0(VALU_DEP_1)
	v_fma_f64 v[72:73], v[8:9], v[16:17], v[0:1]
	v_mul_f64 v[0:1], v[10:11], v[16:17]
	scratch_load_b128 v[10:13], off, off offset:312 ; 16-byte Folded Reload
	v_fma_f64 v[74:75], v[8:9], v[18:19], -v[0:1]
	ds_load_b128 v[0:3], v182 offset:20384
	s_waitcnt vmcnt(0) lgkmcnt(0)
	v_mul_f64 v[8:9], v[12:13], v[2:3]
	s_delay_alu instid0(VALU_DEP_1) | instskip(SKIP_2) | instid1(VALU_DEP_2)
	v_fma_f64 v[76:77], v[10:11], v[0:1], v[8:9]
	v_mul_f64 v[0:1], v[12:13], v[0:1]
	v_add_f64 v[12:13], v[31:32], v[35:36]
	v_fma_f64 v[78:79], v[10:11], v[2:3], -v[0:1]
	v_add_f64 v[0:1], v[27:28], -v[31:32]
	v_add_f64 v[2:3], v[58:59], -v[35:36]
	s_delay_alu instid0(VALU_DEP_1) | instskip(SKIP_2) | instid1(VALU_DEP_1)
	v_add_f64 v[16:17], v[0:1], v[2:3]
	v_add_f64 v[0:1], v[29:30], -v[33:34]
	v_add_f64 v[2:3], v[60:61], -v[37:38]
	v_add_f64 v[18:19], v[0:1], v[2:3]
	ds_load_b128 v[0:3], v182
	ds_load_b128 v[8:11], v182 offset:1456
	s_waitcnt lgkmcnt(0)
	s_barrier
	buffer_gl0_inv
	v_fma_f64 v[20:21], v[12:13], -0.5, v[0:1]
	v_add_f64 v[12:13], v[33:34], v[37:38]
	s_delay_alu instid0(VALU_DEP_1) | instskip(NEXT) | instid1(VALU_DEP_3)
	v_fma_f64 v[22:23], v[12:13], -0.5, v[2:3]
	v_fma_f64 v[12:13], v[54:55], s[8:9], v[20:21]
	v_fma_f64 v[20:21], v[54:55], s[12:13], v[20:21]
	s_delay_alu instid0(VALU_DEP_3) | instskip(NEXT) | instid1(VALU_DEP_3)
	v_fma_f64 v[14:15], v[82:83], s[12:13], v[22:23]
	v_fma_f64 v[12:13], v[80:81], s[0:1], v[12:13]
	;; [unrolled: 1-line block ×3, first 2 shown]
	s_delay_alu instid0(VALU_DEP_4) | instskip(NEXT) | instid1(VALU_DEP_4)
	v_fma_f64 v[20:21], v[80:81], s[2:3], v[20:21]
	v_fma_f64 v[14:15], v[84:85], s[2:3], v[14:15]
	s_delay_alu instid0(VALU_DEP_4) | instskip(NEXT) | instid1(VALU_DEP_4)
	v_fma_f64 v[12:13], v[16:17], s[14:15], v[12:13]
	v_fma_f64 v[22:23], v[84:85], s[0:1], v[22:23]
	s_delay_alu instid0(VALU_DEP_4) | instskip(SKIP_2) | instid1(VALU_DEP_4)
	v_fma_f64 v[16:17], v[16:17], s[14:15], v[20:21]
	v_add_f64 v[20:21], v[27:28], v[58:59]
	v_fma_f64 v[14:15], v[18:19], s[14:15], v[14:15]
	v_fma_f64 v[18:19], v[18:19], s[14:15], v[22:23]
	v_add_f64 v[22:23], v[29:30], v[60:61]
	s_delay_alu instid0(VALU_DEP_4) | instskip(SKIP_2) | instid1(VALU_DEP_4)
	v_fma_f64 v[20:21], v[20:21], -0.5, v[0:1]
	v_add_f64 v[0:1], v[0:1], v[27:28]
	v_add_f64 v[27:28], v[31:32], -v[27:28]
	v_fma_f64 v[22:23], v[22:23], -0.5, v[2:3]
	v_add_f64 v[2:3], v[2:3], v[29:30]
	s_delay_alu instid0(VALU_DEP_4) | instskip(SKIP_2) | instid1(VALU_DEP_4)
	v_add_f64 v[0:1], v[0:1], v[31:32]
	v_add_f64 v[29:30], v[33:34], -v[29:30]
	v_add_f64 v[31:32], v[35:36], -v[58:59]
	v_add_f64 v[2:3], v[2:3], v[33:34]
	s_delay_alu instid0(VALU_DEP_4)
	v_add_f64 v[0:1], v[0:1], v[35:36]
	v_add_f64 v[33:34], v[37:38], -v[60:61]
	v_fma_f64 v[35:36], v[80:81], s[12:13], v[20:21]
	v_fma_f64 v[20:21], v[80:81], s[8:9], v[20:21]
	v_add_f64 v[27:28], v[27:28], v[31:32]
	v_add_f64 v[80:81], v[48:49], -v[56:57]
	v_add_f64 v[2:3], v[2:3], v[37:38]
	v_fma_f64 v[37:38], v[84:85], s[8:9], v[22:23]
	v_add_f64 v[29:30], v[29:30], v[33:34]
	v_fma_f64 v[31:32], v[54:55], s[0:1], v[35:36]
	v_fma_f64 v[33:34], v[54:55], s[2:3], v[20:21]
	;; [unrolled: 1-line block ×3, first 2 shown]
	v_add_f64 v[0:1], v[0:1], v[58:59]
	v_add_f64 v[84:85], v[46:47], -v[50:51]
	v_add_f64 v[2:3], v[2:3], v[60:61]
	v_fma_f64 v[35:36], v[82:83], s[2:3], v[37:38]
	v_add_f64 v[60:61], v[41:42], -v[52:53]
	v_fma_f64 v[20:21], v[27:28], s[14:15], v[31:32]
	v_fma_f64 v[27:28], v[27:28], s[14:15], v[33:34]
	v_add_f64 v[31:32], v[39:40], -v[46:47]
	v_add_f64 v[33:34], v[62:63], -v[50:51]
	v_fma_f64 v[37:38], v[82:83], s[0:1], v[22:23]
	v_add_f64 v[82:83], v[39:40], -v[62:63]
	v_fma_f64 v[22:23], v[29:30], s[14:15], v[35:36]
	s_delay_alu instid0(VALU_DEP_4) | instskip(SKIP_3) | instid1(VALU_DEP_2)
	v_add_f64 v[35:36], v[31:32], v[33:34]
	v_add_f64 v[31:32], v[41:42], -v[48:49]
	v_add_f64 v[33:34], v[52:53], -v[56:57]
	v_fma_f64 v[29:30], v[29:30], s[14:15], v[37:38]
	v_add_f64 v[37:38], v[31:32], v[33:34]
	v_add_f64 v[31:32], v[46:47], v[50:51]
	s_delay_alu instid0(VALU_DEP_1) | instskip(SKIP_1) | instid1(VALU_DEP_1)
	v_fma_f64 v[54:55], v[31:32], -0.5, v[8:9]
	v_add_f64 v[31:32], v[48:49], v[56:57]
	v_fma_f64 v[58:59], v[31:32], -0.5, v[10:11]
	s_delay_alu instid0(VALU_DEP_3) | instskip(SKIP_1) | instid1(VALU_DEP_3)
	v_fma_f64 v[31:32], v[60:61], s[8:9], v[54:55]
	v_fma_f64 v[54:55], v[60:61], s[12:13], v[54:55]
	;; [unrolled: 1-line block ×4, first 2 shown]
	s_delay_alu instid0(VALU_DEP_4) | instskip(NEXT) | instid1(VALU_DEP_4)
	v_fma_f64 v[31:32], v[80:81], s[0:1], v[31:32]
	v_fma_f64 v[54:55], v[80:81], s[2:3], v[54:55]
	s_delay_alu instid0(VALU_DEP_4) | instskip(NEXT) | instid1(VALU_DEP_4)
	v_fma_f64 v[33:34], v[84:85], s[2:3], v[33:34]
	v_fma_f64 v[58:59], v[84:85], s[0:1], v[58:59]
	;; [unrolled: 3-line block ×3, first 2 shown]
	v_add_f64 v[54:55], v[39:40], v[62:63]
	v_fma_f64 v[33:34], v[37:38], s[14:15], v[33:34]
	v_fma_f64 v[37:38], v[37:38], s[14:15], v[58:59]
	v_add_f64 v[58:59], v[41:42], v[52:53]
	s_delay_alu instid0(VALU_DEP_4) | instskip(SKIP_2) | instid1(VALU_DEP_4)
	v_fma_f64 v[54:55], v[54:55], -0.5, v[8:9]
	v_add_f64 v[8:9], v[8:9], v[39:40]
	v_add_f64 v[39:40], v[46:47], -v[39:40]
	v_fma_f64 v[58:59], v[58:59], -0.5, v[10:11]
	v_add_f64 v[10:11], v[10:11], v[41:42]
	v_add_f64 v[41:42], v[48:49], -v[41:42]
	v_add_f64 v[8:9], v[8:9], v[46:47]
	v_add_f64 v[46:47], v[50:51], -v[62:63]
	s_delay_alu instid0(VALU_DEP_4) | instskip(SKIP_1) | instid1(VALU_DEP_4)
	v_add_f64 v[10:11], v[10:11], v[48:49]
	v_add_f64 v[48:49], v[56:57], -v[52:53]
	v_add_f64 v[8:9], v[8:9], v[50:51]
	v_fma_f64 v[50:51], v[80:81], s[12:13], v[54:55]
	v_add_f64 v[46:47], v[39:40], v[46:47]
	v_add_f64 v[10:11], v[10:11], v[56:57]
	v_fma_f64 v[56:57], v[84:85], s[12:13], v[58:59]
	v_add_f64 v[48:49], v[41:42], v[48:49]
	v_fma_f64 v[39:40], v[60:61], s[0:1], v[50:51]
	v_add_f64 v[8:9], v[8:9], v[62:63]
	v_add_f64 v[62:63], v[70:71], -v[74:75]
	v_add_f64 v[10:11], v[10:11], v[52:53]
	v_fma_f64 v[52:53], v[80:81], s[8:9], v[54:55]
	v_fma_f64 v[54:55], v[84:85], s[8:9], v[58:59]
	;; [unrolled: 1-line block ×3, first 2 shown]
	v_add_f64 v[80:81], v[66:67], -v[78:79]
	v_add_f64 v[84:85], v[64:65], -v[76:77]
	v_fma_f64 v[50:51], v[60:61], s[2:3], v[52:53]
	v_fma_f64 v[41:42], v[82:83], s[2:3], v[54:55]
	;; [unrolled: 1-line block ×3, first 2 shown]
	v_add_f64 v[82:83], v[68:69], -v[72:73]
	s_delay_alu instid0(VALU_DEP_4) | instskip(NEXT) | instid1(VALU_DEP_4)
	v_fma_f64 v[46:47], v[46:47], s[14:15], v[50:51]
	v_fma_f64 v[41:42], v[48:49], s[14:15], v[41:42]
	s_delay_alu instid0(VALU_DEP_4) | instskip(SKIP_2) | instid1(VALU_DEP_1)
	v_fma_f64 v[48:49], v[48:49], s[14:15], v[52:53]
	v_add_f64 v[50:51], v[68:69], -v[64:65]
	v_add_f64 v[52:53], v[72:73], -v[76:77]
	v_add_f64 v[54:55], v[50:51], v[52:53]
	v_add_f64 v[50:51], v[70:71], -v[66:67]
	v_add_f64 v[52:53], v[74:75], -v[78:79]
	s_delay_alu instid0(VALU_DEP_1) | instskip(SKIP_1) | instid1(VALU_DEP_1)
	v_add_f64 v[56:57], v[50:51], v[52:53]
	v_add_f64 v[50:51], v[64:65], v[76:77]
	v_fma_f64 v[58:59], v[50:51], -0.5, v[4:5]
	v_add_f64 v[50:51], v[66:67], v[78:79]
	s_delay_alu instid0(VALU_DEP_1) | instskip(NEXT) | instid1(VALU_DEP_3)
	v_fma_f64 v[60:61], v[50:51], -0.5, v[6:7]
	v_fma_f64 v[50:51], v[62:63], s[12:13], v[58:59]
	v_fma_f64 v[58:59], v[62:63], s[8:9], v[58:59]
	s_delay_alu instid0(VALU_DEP_3) | instskip(SKIP_1) | instid1(VALU_DEP_4)
	v_fma_f64 v[52:53], v[82:83], s[8:9], v[60:61]
	v_fma_f64 v[60:61], v[82:83], s[12:13], v[60:61]
	;; [unrolled: 1-line block ×3, first 2 shown]
	s_delay_alu instid0(VALU_DEP_4) | instskip(NEXT) | instid1(VALU_DEP_4)
	v_fma_f64 v[58:59], v[80:81], s[2:3], v[58:59]
	v_fma_f64 v[52:53], v[84:85], s[2:3], v[52:53]
	s_delay_alu instid0(VALU_DEP_4) | instskip(NEXT) | instid1(VALU_DEP_4)
	v_fma_f64 v[60:61], v[84:85], s[0:1], v[60:61]
	v_fma_f64 v[50:51], v[54:55], s[14:15], v[50:51]
	s_delay_alu instid0(VALU_DEP_4) | instskip(SKIP_4) | instid1(VALU_DEP_4)
	v_fma_f64 v[54:55], v[54:55], s[14:15], v[58:59]
	v_add_f64 v[58:59], v[68:69], v[72:73]
	v_fma_f64 v[52:53], v[56:57], s[14:15], v[52:53]
	v_fma_f64 v[56:57], v[56:57], s[14:15], v[60:61]
	v_add_f64 v[60:61], v[70:71], v[74:75]
	v_fma_f64 v[58:59], v[58:59], -0.5, v[4:5]
	v_add_f64 v[4:5], v[4:5], v[64:65]
	v_add_f64 v[64:65], v[64:65], -v[68:69]
	s_delay_alu instid0(VALU_DEP_4) | instskip(SKIP_4) | instid1(VALU_DEP_4)
	v_fma_f64 v[60:61], v[60:61], -0.5, v[6:7]
	v_add_f64 v[6:7], v[6:7], v[66:67]
	v_add_f64 v[66:67], v[66:67], -v[70:71]
	v_add_f64 v[4:5], v[4:5], v[68:69]
	v_add_f64 v[68:69], v[76:77], -v[72:73]
	;; [unrolled: 2-line block ×3, first 2 shown]
	s_delay_alu instid0(VALU_DEP_4)
	v_add_f64 v[4:5], v[4:5], v[72:73]
	v_fma_f64 v[72:73], v[80:81], s[8:9], v[58:59]
	v_fma_f64 v[58:59], v[80:81], s[12:13], v[58:59]
	v_add_f64 v[64:65], v[64:65], v[68:69]
	v_add_f64 v[6:7], v[6:7], v[74:75]
	v_fma_f64 v[74:75], v[84:85], s[12:13], v[60:61]
	v_fma_f64 v[60:61], v[84:85], s[8:9], v[60:61]
	v_add_f64 v[66:67], v[66:67], v[70:71]
	v_fma_f64 v[68:69], v[62:63], s[0:1], v[72:73]
	v_fma_f64 v[62:63], v[62:63], s[2:3], v[58:59]
	v_add_f64 v[4:5], v[4:5], v[76:77]
	v_add_f64 v[6:7], v[6:7], v[78:79]
	v_fma_f64 v[70:71], v[82:83], s[2:3], v[74:75]
	v_fma_f64 v[72:73], v[82:83], s[0:1], v[60:61]
	s_mov_b32 s0, 0xe8584caa
	v_fma_f64 v[58:59], v[64:65], s[14:15], v[68:69]
	v_fma_f64 v[62:63], v[64:65], s[14:15], v[62:63]
	s_mov_b32 s1, 0xbfebb67a
	s_mov_b32 s3, 0x3febb67a
	;; [unrolled: 1-line block ×3, first 2 shown]
	s_delay_alu instid0(VALU_DEP_4) | instskip(NEXT) | instid1(VALU_DEP_4)
	v_fma_f64 v[60:61], v[66:67], s[14:15], v[70:71]
	v_fma_f64 v[64:65], v[66:67], s[14:15], v[72:73]
	ds_store_b128 v182, v[0:3]
	ds_store_b128 v182, v[12:15] offset:1456
	ds_store_b128 v182, v[20:23] offset:2912
	ds_store_b128 v182, v[27:30] offset:4368
	ds_store_b128 v182, v[8:11] offset:7280
	ds_store_b128 v182, v[16:19] offset:5824
	ds_store_b128 v182, v[31:34] offset:8736
	ds_store_b128 v182, v[39:42] offset:10192
	ds_store_b128 v182, v[46:49] offset:11648
	ds_store_b128 v182, v[35:38] offset:13104
	ds_store_b128 v157, v[4:7] offset:14560
	ds_store_b128 v157, v[58:61] offset:16016
	ds_store_b128 v157, v[50:53] offset:17472
	ds_store_b128 v157, v[54:57] offset:18928
	ds_store_b128 v157, v[62:65] offset:20384
	s_waitcnt lgkmcnt(0)
	s_barrier
	buffer_gl0_inv
	ds_load_b128 v[0:3], v182 offset:7280
	ds_load_b128 v[4:7], v182 offset:5824
	scratch_load_b128 v[10:13], off, off offset:280 ; 16-byte Folded Reload
	s_waitcnt vmcnt(0) lgkmcnt(1)
	v_mul_f64 v[8:9], v[12:13], v[2:3]
	s_delay_alu instid0(VALU_DEP_1) | instskip(SKIP_1) | instid1(VALU_DEP_1)
	v_fma_f64 v[16:17], v[10:11], v[0:1], v[8:9]
	v_mul_f64 v[0:1], v[12:13], v[0:1]
	v_fma_f64 v[18:19], v[10:11], v[2:3], -v[0:1]
	ds_load_b128 v[0:3], v182 offset:14560
	ds_load_b128 v[8:11], v182 offset:16016
	scratch_load_b128 v[27:30], off, off offset:264 ; 16-byte Folded Reload
	s_waitcnt vmcnt(0) lgkmcnt(1)
	v_mul_f64 v[12:13], v[29:30], v[2:3]
	s_delay_alu instid0(VALU_DEP_1) | instskip(SKIP_1) | instid1(VALU_DEP_1)
	v_fma_f64 v[20:21], v[27:28], v[0:1], v[12:13]
	v_mul_f64 v[0:1], v[29:30], v[0:1]
	v_fma_f64 v[22:23], v[27:28], v[2:3], -v[0:1]
	ds_load_b128 v[0:3], v182 offset:8736
	ds_load_b128 v[12:15], v182 offset:10192
	s_clause 0x1
	scratch_load_b128 v[29:32], off, off offset:576
	scratch_load_b128 v[33:36], off, off offset:560
	s_waitcnt vmcnt(1) lgkmcnt(1)
	v_mul_f64 v[27:28], v[31:32], v[2:3]
	s_delay_alu instid0(VALU_DEP_1) | instskip(SKIP_1) | instid1(VALU_DEP_1)
	v_fma_f64 v[27:28], v[29:30], v[0:1], v[27:28]
	v_mul_f64 v[0:1], v[31:32], v[0:1]
	v_fma_f64 v[29:30], v[29:30], v[2:3], -v[0:1]
	s_waitcnt vmcnt(0)
	v_mul_f64 v[0:1], v[35:36], v[10:11]
	s_delay_alu instid0(VALU_DEP_1) | instskip(SKIP_1) | instid1(VALU_DEP_1)
	v_fma_f64 v[31:32], v[33:34], v[8:9], v[0:1]
	v_mul_f64 v[0:1], v[35:36], v[8:9]
	v_fma_f64 v[33:34], v[33:34], v[10:11], -v[0:1]
	scratch_load_b128 v[8:11], off, off offset:608 ; 16-byte Folded Reload
	s_waitcnt vmcnt(0) lgkmcnt(0)
	v_mul_f64 v[0:1], v[10:11], v[14:15]
	s_delay_alu instid0(VALU_DEP_1) | instskip(SKIP_1) | instid1(VALU_DEP_1)
	v_fma_f64 v[39:40], v[8:9], v[12:13], v[0:1]
	v_mul_f64 v[0:1], v[10:11], v[12:13]
	v_fma_f64 v[41:42], v[8:9], v[14:15], -v[0:1]
	ds_load_b128 v[0:3], v182 offset:17472
	ds_load_b128 v[8:11], v182 offset:18928
	scratch_load_b128 v[35:38], off, off offset:592 ; 16-byte Folded Reload
	s_waitcnt vmcnt(0) lgkmcnt(1)
	v_mul_f64 v[12:13], v[37:38], v[2:3]
	s_delay_alu instid0(VALU_DEP_1) | instskip(SKIP_1) | instid1(VALU_DEP_2)
	v_fma_f64 v[46:47], v[35:36], v[0:1], v[12:13]
	v_mul_f64 v[0:1], v[37:38], v[0:1]
	v_add_f64 v[66:67], v[39:40], v[46:47]
	s_delay_alu instid0(VALU_DEP_2)
	v_fma_f64 v[48:49], v[35:36], v[2:3], -v[0:1]
	ds_load_b128 v[0:3], v182 offset:11648
	ds_load_b128 v[12:15], v182 offset:13104
	scratch_load_b128 v[52:55], off, off offset:640 ; 16-byte Folded Reload
	v_add_f64 v[68:69], v[41:42], v[48:49]
	s_waitcnt vmcnt(0) lgkmcnt(1)
	v_mul_f64 v[35:36], v[54:55], v[2:3]
	s_delay_alu instid0(VALU_DEP_1) | instskip(SKIP_2) | instid1(VALU_DEP_1)
	v_fma_f64 v[50:51], v[52:53], v[0:1], v[35:36]
	scratch_load_b128 v[35:38], off, off offset:624 ; 16-byte Folded Reload
	v_mul_f64 v[0:1], v[54:55], v[0:1]
	v_fma_f64 v[52:53], v[52:53], v[2:3], -v[0:1]
	s_waitcnt vmcnt(0)
	v_mul_f64 v[0:1], v[37:38], v[10:11]
	s_delay_alu instid0(VALU_DEP_1) | instskip(SKIP_1) | instid1(VALU_DEP_1)
	v_fma_f64 v[54:55], v[35:36], v[8:9], v[0:1]
	v_mul_f64 v[0:1], v[37:38], v[8:9]
	v_fma_f64 v[56:57], v[35:36], v[10:11], -v[0:1]
	scratch_load_b128 v[8:11], off, off offset:672 ; 16-byte Folded Reload
	s_waitcnt vmcnt(0) lgkmcnt(0)
	v_mul_f64 v[0:1], v[10:11], v[14:15]
	s_delay_alu instid0(VALU_DEP_1)
	v_fma_f64 v[58:59], v[8:9], v[12:13], v[0:1]
	v_mul_f64 v[0:1], v[10:11], v[12:13]
	scratch_load_b128 v[10:13], off, off offset:656 ; 16-byte Folded Reload
	v_fma_f64 v[60:61], v[8:9], v[14:15], -v[0:1]
	ds_load_b128 v[0:3], v182 offset:20384
	s_waitcnt vmcnt(0) lgkmcnt(0)
	v_mul_f64 v[8:9], v[12:13], v[2:3]
	s_delay_alu instid0(VALU_DEP_1) | instskip(SKIP_2) | instid1(VALU_DEP_2)
	v_fma_f64 v[62:63], v[10:11], v[0:1], v[8:9]
	v_mul_f64 v[0:1], v[12:13], v[0:1]
	v_add_f64 v[12:13], v[16:17], v[20:21]
	v_fma_f64 v[64:65], v[10:11], v[2:3], -v[0:1]
	ds_load_b128 v[0:3], v182
	ds_load_b128 v[8:11], v182 offset:1456
	s_waitcnt lgkmcnt(1)
	v_fma_f64 v[14:15], v[12:13], -0.5, v[0:1]
	v_add_f64 v[12:13], v[18:19], v[22:23]
	v_add_f64 v[0:1], v[0:1], v[16:17]
	s_delay_alu instid0(VALU_DEP_2) | instskip(SKIP_2) | instid1(VALU_DEP_4)
	v_fma_f64 v[35:36], v[12:13], -0.5, v[2:3]
	v_add_f64 v[2:3], v[2:3], v[18:19]
	v_add_f64 v[18:19], v[18:19], -v[22:23]
	v_add_f64 v[0:1], v[0:1], v[20:21]
	v_add_f64 v[20:21], v[16:17], -v[20:21]
	s_delay_alu instid0(VALU_DEP_4) | instskip(NEXT) | instid1(VALU_DEP_4)
	v_add_f64 v[2:3], v[2:3], v[22:23]
	v_fma_f64 v[12:13], v[18:19], s[0:1], v[14:15]
	v_fma_f64 v[16:17], v[18:19], s[2:3], v[14:15]
	s_delay_alu instid0(VALU_DEP_4) | instskip(SKIP_3) | instid1(VALU_DEP_1)
	v_fma_f64 v[14:15], v[20:21], s[2:3], v[35:36]
	v_fma_f64 v[18:19], v[20:21], s[0:1], v[35:36]
	v_add_f64 v[20:21], v[27:28], v[31:32]
	s_waitcnt lgkmcnt(0)
	v_fma_f64 v[22:23], v[20:21], -0.5, v[8:9]
	v_add_f64 v[20:21], v[29:30], v[33:34]
	v_add_f64 v[8:9], v[8:9], v[27:28]
	s_delay_alu instid0(VALU_DEP_2) | instskip(SKIP_2) | instid1(VALU_DEP_4)
	v_fma_f64 v[35:36], v[20:21], -0.5, v[10:11]
	v_add_f64 v[10:11], v[10:11], v[29:30]
	v_add_f64 v[29:30], v[29:30], -v[33:34]
	v_add_f64 v[8:9], v[8:9], v[31:32]
	v_add_f64 v[31:32], v[27:28], -v[31:32]
	s_delay_alu instid0(VALU_DEP_4) | instskip(NEXT) | instid1(VALU_DEP_4)
	v_add_f64 v[10:11], v[10:11], v[33:34]
	v_fma_f64 v[20:21], v[29:30], s[0:1], v[22:23]
	v_fma_f64 v[27:28], v[29:30], s[2:3], v[22:23]
	s_delay_alu instid0(VALU_DEP_4)
	v_fma_f64 v[22:23], v[31:32], s[2:3], v[35:36]
	v_fma_f64 v[29:30], v[31:32], s[0:1], v[35:36]
	ds_load_b128 v[31:34], v182 offset:2912
	ds_load_b128 v[35:38], v182 offset:4368
	s_waitcnt lgkmcnt(1)
	v_fma_f64 v[68:69], v[68:69], -0.5, v[33:34]
	v_add_f64 v[33:34], v[33:34], v[41:42]
	v_fma_f64 v[66:67], v[66:67], -0.5, v[31:32]
	v_add_f64 v[31:32], v[31:32], v[39:40]
	v_add_f64 v[41:42], v[41:42], -v[48:49]
	s_delay_alu instid0(VALU_DEP_4) | instskip(SKIP_1) | instid1(VALU_DEP_4)
	v_add_f64 v[33:34], v[33:34], v[48:49]
	v_add_f64 v[48:49], v[39:40], -v[46:47]
	v_add_f64 v[31:32], v[31:32], v[46:47]
	s_delay_alu instid0(VALU_DEP_4) | instskip(SKIP_1) | instid1(VALU_DEP_4)
	v_fma_f64 v[39:40], v[41:42], s[0:1], v[66:67]
	v_fma_f64 v[46:47], v[41:42], s[2:3], v[66:67]
	;; [unrolled: 1-line block ×4, first 2 shown]
	ds_store_b128 v182, v[0:3]
	ds_store_b128 v183, v[8:11] offset:1456
	ds_store_b128 v183, v[31:34] offset:2912
	ds_store_b128 v183, v[12:15] offset:7280
	ds_store_b128 v183, v[20:23] offset:8736
	ds_store_b128 v183, v[16:19] offset:14560
	ds_store_b128 v183, v[27:30] offset:16016
	ds_store_b128 v26, v[39:42] offset:7280
	ds_store_b128 v26, v[46:49] offset:14560
	v_add_f64 v[0:1], v[50:51], v[54:55]
	s_waitcnt lgkmcnt(9)
	v_add_f64 v[8:9], v[35:36], v[50:51]
	v_add_f64 v[12:13], v[52:53], -v[56:57]
	v_add_f64 v[16:17], v[50:51], -v[54:55]
	s_delay_alu instid0(VALU_DEP_4) | instskip(SKIP_1) | instid1(VALU_DEP_1)
	v_fma_f64 v[10:11], v[0:1], -0.5, v[35:36]
	v_add_f64 v[0:1], v[52:53], v[56:57]
	v_fma_f64 v[14:15], v[0:1], -0.5, v[37:38]
	v_add_f64 v[0:1], v[37:38], v[52:53]
	s_delay_alu instid0(VALU_DEP_1)
	v_add_f64 v[2:3], v[0:1], v[56:57]
	v_add_f64 v[0:1], v[8:9], v[54:55]
	v_fma_f64 v[8:9], v[12:13], s[0:1], v[10:11]
	v_fma_f64 v[12:13], v[12:13], s[2:3], v[10:11]
	;; [unrolled: 1-line block ×4, first 2 shown]
	ds_store_b128 v183, v[0:3] offset:4368
	ds_store_b128 v25, v[8:11] offset:7280
	;; [unrolled: 1-line block ×3, first 2 shown]
	v_add_f64 v[0:1], v[58:59], v[62:63]
	v_add_f64 v[12:13], v[58:59], -v[62:63]
	s_delay_alu instid0(VALU_DEP_2) | instskip(SKIP_2) | instid1(VALU_DEP_2)
	v_fma_f64 v[8:9], v[0:1], -0.5, v[4:5]
	v_add_f64 v[0:1], v[60:61], v[64:65]
	v_add_f64 v[4:5], v[4:5], v[58:59]
	v_fma_f64 v[10:11], v[0:1], -0.5, v[6:7]
	v_add_f64 v[0:1], v[6:7], v[60:61]
	v_add_f64 v[6:7], v[60:61], -v[64:65]
	s_delay_alu instid0(VALU_DEP_2) | instskip(SKIP_1) | instid1(VALU_DEP_3)
	v_add_f64 v[2:3], v[0:1], v[64:65]
	v_add_f64 v[0:1], v[4:5], v[62:63]
	v_fma_f64 v[4:5], v[6:7], s[0:1], v[8:9]
	v_fma_f64 v[8:9], v[6:7], s[2:3], v[8:9]
	;; [unrolled: 1-line block ×4, first 2 shown]
	ds_store_b128 v183, v[0:3] offset:5824
	ds_store_b128 v24, v[4:7] offset:7280
	;; [unrolled: 1-line block ×3, first 2 shown]
	s_waitcnt lgkmcnt(0)
	s_barrier
	buffer_gl0_inv
	ds_load_b128 v[0:3], v182
	ds_load_b128 v[8:11], v182 offset:1680
	scratch_load_b128 v[12:15], off, off offset:120 ; 16-byte Folded Reload
	s_mul_i32 s1, s5, 0x69
	s_mul_hi_u32 s3, s4, 0x69
	s_mul_i32 s2, s4, 0x69
	s_add_i32 s3, s3, s1
	s_delay_alu instid0(SALU_CYCLE_1) | instskip(SKIP_2) | instid1(VALU_DEP_1)
	s_lshl_b64 s[2:3], s[2:3], 4
	s_waitcnt vmcnt(0) lgkmcnt(1)
	v_mul_f64 v[4:5], v[14:15], v[2:3]
	v_fma_f64 v[4:5], v[12:13], v[0:1], v[4:5]
	v_mul_f64 v[0:1], v[14:15], v[0:1]
	s_delay_alu instid0(VALU_DEP_1) | instskip(SKIP_4) | instid1(VALU_DEP_2)
	v_fma_f64 v[6:7], v[12:13], v[2:3], -v[0:1]
	scratch_load_b128 v[12:15], off, off offset:168 ; 16-byte Folded Reload
	s_waitcnt vmcnt(0) lgkmcnt(0)
	v_mul_f64 v[0:1], v[14:15], v[10:11]
	v_mul_f64 v[2:3], v[14:15], v[8:9]
	v_fma_f64 v[0:1], v[12:13], v[8:9], v[0:1]
	s_delay_alu instid0(VALU_DEP_2)
	v_fma_f64 v[2:3], v[12:13], v[10:11], -v[2:3]
	ds_load_b128 v[8:11], v182 offset:3360
	ds_load_b128 v[12:15], v182 offset:5040
	s_clause 0x1
	scratch_load_b128 v[18:21], off, off offset:104
	scratch_load_b128 v[22:25], off, off offset:248
	s_waitcnt vmcnt(1) lgkmcnt(1)
	v_mul_f64 v[16:17], v[20:21], v[10:11]
	s_delay_alu instid0(VALU_DEP_1) | instskip(SKIP_1) | instid1(VALU_DEP_1)
	v_fma_f64 v[16:17], v[18:19], v[8:9], v[16:17]
	v_mul_f64 v[8:9], v[20:21], v[8:9]
	v_fma_f64 v[18:19], v[18:19], v[10:11], -v[8:9]
	s_waitcnt vmcnt(0) lgkmcnt(0)
	v_mul_f64 v[8:9], v[24:25], v[14:15]
	v_mul_f64 v[10:11], v[24:25], v[12:13]
	s_delay_alu instid0(VALU_DEP_2) | instskip(NEXT) | instid1(VALU_DEP_2)
	v_fma_f64 v[20:21], v[22:23], v[12:13], v[8:9]
	v_fma_f64 v[22:23], v[22:23], v[14:15], -v[10:11]
	ds_load_b128 v[8:11], v182 offset:6720
	ds_load_b128 v[12:15], v182 offset:8400
	s_clause 0x1
	scratch_load_b128 v[26:29], off, off offset:216
	scratch_load_b128 v[30:33], off, off offset:232
	s_waitcnt vmcnt(1) lgkmcnt(1)
	v_mul_f64 v[24:25], v[28:29], v[10:11]
	s_delay_alu instid0(VALU_DEP_1) | instskip(SKIP_1) | instid1(VALU_DEP_1)
	v_fma_f64 v[24:25], v[26:27], v[8:9], v[24:25]
	v_mul_f64 v[8:9], v[28:29], v[8:9]
	v_fma_f64 v[26:27], v[26:27], v[10:11], -v[8:9]
	s_waitcnt vmcnt(0) lgkmcnt(0)
	v_mul_f64 v[8:9], v[32:33], v[14:15]
	v_mul_f64 v[10:11], v[32:33], v[12:13]
	s_delay_alu instid0(VALU_DEP_2) | instskip(NEXT) | instid1(VALU_DEP_2)
	v_fma_f64 v[28:29], v[30:31], v[12:13], v[8:9]
	;; [unrolled: 17-line block ×3, first 2 shown]
	v_fma_f64 v[38:39], v[38:39], v[14:15], -v[10:11]
	ds_load_b128 v[8:11], v182 offset:13440
	ds_load_b128 v[12:15], v182 offset:15120
	scratch_load_b128 v[46:49], off, off offset:152 ; 16-byte Folded Reload
	s_waitcnt vmcnt(0) lgkmcnt(1)
	v_mul_f64 v[40:41], v[48:49], v[10:11]
	s_delay_alu instid0(VALU_DEP_1)
	v_fma_f64 v[40:41], v[46:47], v[8:9], v[40:41]
	v_mul_f64 v[8:9], v[48:49], v[8:9]
	scratch_load_b128 v[48:51], off, off offset:136 ; 16-byte Folded Reload
	v_fma_f64 v[42:43], v[46:47], v[10:11], -v[8:9]
	s_waitcnt vmcnt(0) lgkmcnt(0)
	v_mul_f64 v[8:9], v[50:51], v[14:15]
	v_mul_f64 v[10:11], v[50:51], v[12:13]
	s_delay_alu instid0(VALU_DEP_2) | instskip(NEXT) | instid1(VALU_DEP_2)
	v_fma_f64 v[46:47], v[48:49], v[12:13], v[8:9]
	v_fma_f64 v[48:49], v[48:49], v[14:15], -v[10:11]
	ds_load_b128 v[8:11], v182 offset:16800
	ds_load_b128 v[12:15], v182 offset:18480
	s_clause 0x3
	scratch_load_b128 v[52:55], off, off offset:88
	scratch_load_b128 v[58:61], off, off offset:72
	;; [unrolled: 1-line block ×3, first 2 shown]
	scratch_load_b32 v63, off, off
	s_waitcnt vmcnt(3) lgkmcnt(1)
	v_mul_f64 v[50:51], v[54:55], v[10:11]
	s_delay_alu instid0(VALU_DEP_1)
	v_fma_f64 v[50:51], v[52:53], v[8:9], v[50:51]
	v_mul_f64 v[8:9], v[54:55], v[8:9]
	scratch_load_b64 v[54:55], off, off offset:48 ; 8-byte Folded Reload
	v_fma_f64 v[52:53], v[52:53], v[10:11], -v[8:9]
	s_waitcnt vmcnt(3) lgkmcnt(0)
	v_mul_f64 v[8:9], v[60:61], v[14:15]
	v_mul_f64 v[10:11], v[60:61], v[12:13]
	s_delay_alu instid0(VALU_DEP_2) | instskip(NEXT) | instid1(VALU_DEP_2)
	v_fma_f64 v[56:57], v[58:59], v[12:13], v[8:9]
	v_fma_f64 v[58:59], v[58:59], v[14:15], -v[10:11]
	ds_load_b128 v[8:11], v182 offset:20160
	s_waitcnt vmcnt(1)
	v_mad_u64_u32 v[12:13], null, s4, v63, 0
	s_waitcnt vmcnt(0)
	v_mov_b32_e32 v62, v54
	s_delay_alu instid0(VALU_DEP_1) | instskip(NEXT) | instid1(VALU_DEP_1)
	v_mad_u64_u32 v[54:55], null, s6, v62, 0
	v_mov_b32_e32 v14, v55
	s_delay_alu instid0(VALU_DEP_1)
	v_mad_u64_u32 v[60:61], null, s7, v62, v[14:15]
	v_mad_u64_u32 v[14:15], null, s5, v63, v[13:14]
	s_waitcnt lgkmcnt(0)
	v_mul_f64 v[62:63], v[70:71], v[8:9]
	s_mov_b32 s6, 0x18018018
	s_mov_b32 s7, 0x3f480180
	s_delay_alu instid0(VALU_DEP_3) | instskip(SKIP_1) | instid1(VALU_DEP_4)
	v_mov_b32_e32 v55, v60
	v_mul_f64 v[60:61], v[70:71], v[10:11]
	v_mov_b32_e32 v13, v14
	v_mul_f64 v[4:5], v[4:5], s[6:7]
	v_mul_f64 v[6:7], v[6:7], s[6:7]
	v_lshlrev_b64 v[14:15], 4, v[54:55]
	v_mul_f64 v[0:1], v[0:1], s[6:7]
	v_lshlrev_b64 v[12:13], 4, v[12:13]
	v_mul_f64 v[2:3], v[2:3], s[6:7]
	s_delay_alu instid0(VALU_DEP_4) | instskip(NEXT) | instid1(VALU_DEP_1)
	v_add_co_u32 v14, s0, s10, v14
	v_add_co_ci_u32_e64 v15, s0, s11, v15, s0
	s_delay_alu instid0(VALU_DEP_2) | instskip(NEXT) | instid1(VALU_DEP_1)
	v_add_co_u32 v54, s0, v14, v12
	v_add_co_ci_u32_e64 v55, s0, v15, v13, s0
	v_mul_f64 v[12:13], v[20:21], s[6:7]
	s_delay_alu instid0(VALU_DEP_3) | instskip(NEXT) | instid1(VALU_DEP_1)
	v_add_co_u32 v64, s0, v54, s2
	v_add_co_ci_u32_e64 v65, s0, s3, v55, s0
	v_mul_f64 v[14:15], v[22:23], s[6:7]
	s_delay_alu instid0(VALU_DEP_3) | instskip(NEXT) | instid1(VALU_DEP_1)
	v_add_co_u32 v66, s0, v64, s2
	v_add_co_ci_u32_e64 v67, s0, s3, v65, s0
	v_mul_f64 v[20:21], v[28:29], s[6:7]
	v_mul_f64 v[28:29], v[36:37], s[6:7]
	;; [unrolled: 1-line block ×4, first 2 shown]
	v_fma_f64 v[62:63], v[68:69], v[10:11], -v[62:63]
	v_mul_f64 v[10:11], v[18:19], s[6:7]
	v_mul_f64 v[18:19], v[26:27], s[6:7]
	;; [unrolled: 1-line block ×4, first 2 shown]
	v_fma_f64 v[60:61], v[68:69], v[8:9], v[60:61]
	v_add_co_u32 v68, s0, v66, s2
	s_delay_alu instid0(VALU_DEP_1) | instskip(SKIP_1) | instid1(VALU_DEP_3)
	v_add_co_ci_u32_e64 v69, s0, s3, v67, s0
	v_mul_f64 v[8:9], v[16:17], s[6:7]
	v_add_co_u32 v70, s0, v68, s2
	s_delay_alu instid0(VALU_DEP_1) | instskip(SKIP_1) | instid1(VALU_DEP_3)
	v_add_co_ci_u32_e64 v71, s0, s3, v69, s0
	v_mul_f64 v[16:17], v[24:25], s[6:7]
	v_add_co_u32 v72, s0, v70, s2
	s_delay_alu instid0(VALU_DEP_1) | instskip(SKIP_1) | instid1(VALU_DEP_3)
	v_add_co_ci_u32_e64 v73, s0, s3, v71, s0
	v_mul_f64 v[24:25], v[32:33], s[6:7]
	v_add_co_u32 v56, s0, v72, s2
	s_delay_alu instid0(VALU_DEP_1)
	v_add_co_ci_u32_e64 v57, s0, s3, v73, s0
	v_mul_f64 v[30:31], v[38:39], s[6:7]
	v_mul_f64 v[32:33], v[40:41], s[6:7]
	;; [unrolled: 1-line block ×3, first 2 shown]
	global_store_b128 v[54:55], v[4:7], off
	v_add_co_u32 v4, s0, v56, s2
	v_mul_f64 v[38:39], v[48:49], s[6:7]
	v_mul_f64 v[40:41], v[50:51], s[6:7]
	;; [unrolled: 1-line block ×3, first 2 shown]
	v_add_co_ci_u32_e64 v5, s0, s3, v57, s0
	v_mul_f64 v[48:49], v[58:59], s[6:7]
	v_add_co_u32 v6, s0, v4, s2
	v_mul_f64 v[52:53], v[62:63], s[6:7]
	s_delay_alu instid0(VALU_DEP_4) | instskip(NEXT) | instid1(VALU_DEP_3)
	v_add_co_ci_u32_e64 v7, s0, s3, v5, s0
	v_add_co_u32 v54, s0, v6, s2
	v_mul_f64 v[50:51], v[60:61], s[6:7]
	s_delay_alu instid0(VALU_DEP_3) | instskip(SKIP_2) | instid1(VALU_DEP_1)
	v_add_co_ci_u32_e64 v55, s0, s3, v7, s0
	global_store_b128 v[64:65], v[0:3], off
	v_add_co_u32 v2, s0, v54, s2
	v_add_co_ci_u32_e64 v3, s0, s3, v55, s0
	s_delay_alu instid0(VALU_DEP_2) | instskip(NEXT) | instid1(VALU_DEP_1)
	v_add_co_u32 v58, s0, v2, s2
	v_add_co_ci_u32_e64 v59, s0, s3, v3, s0
	s_delay_alu instid0(VALU_DEP_2) | instskip(NEXT) | instid1(VALU_DEP_1)
	v_add_co_u32 v0, s0, v58, s2
	v_add_co_ci_u32_e64 v1, s0, s3, v59, s0
	s_clause 0x2
	global_store_b128 v[66:67], v[8:11], off
	global_store_b128 v[68:69], v[12:15], off
	;; [unrolled: 1-line block ×11, first 2 shown]
	s_and_b32 exec_lo, exec_lo, vcc_lo
	s_cbranch_execz .LBB0_23
; %bb.22:
	scratch_load_b64 v[14:15], off, off offset:4 ; 8-byte Folded Reload
	ds_load_b128 v[6:9], v183 offset:1456
	v_mad_u64_u32 v[12:13], null, 0xffffb6f0, s4, v[0:1]
	s_mul_i32 s0, s5, 0xffffb6f0
	s_delay_alu instid0(SALU_CYCLE_1)
	s_sub_i32 s0, s0, s4
	s_delay_alu instid0(VALU_DEP_1) | instid1(SALU_CYCLE_1)
	v_add_nc_u32_e32 v13, s0, v13
	s_waitcnt vmcnt(0)
	global_load_b128 v[2:5], v[14:15], off offset:1456
	s_waitcnt vmcnt(0) lgkmcnt(0)
	v_mul_f64 v[10:11], v[8:9], v[4:5]
	v_mul_f64 v[4:5], v[6:7], v[4:5]
	s_delay_alu instid0(VALU_DEP_2) | instskip(NEXT) | instid1(VALU_DEP_2)
	v_fma_f64 v[6:7], v[6:7], v[2:3], v[10:11]
	v_fma_f64 v[4:5], v[2:3], v[8:9], -v[4:5]
	s_delay_alu instid0(VALU_DEP_2) | instskip(NEXT) | instid1(VALU_DEP_2)
	v_mul_f64 v[2:3], v[6:7], s[6:7]
	v_mul_f64 v[4:5], v[4:5], s[6:7]
	global_store_b128 v[12:13], v[2:5], off
	global_load_b128 v[0:3], v[14:15], off offset:3136
	ds_load_b128 v[4:7], v182 offset:3136
	ds_load_b128 v[8:11], v182 offset:4816
	scratch_load_b64 v[16:17], off, off offset:40 ; 8-byte Folded Reload
	s_waitcnt vmcnt(1) lgkmcnt(1)
	v_mul_f64 v[14:15], v[6:7], v[2:3]
	v_mul_f64 v[2:3], v[4:5], v[2:3]
	s_delay_alu instid0(VALU_DEP_2) | instskip(NEXT) | instid1(VALU_DEP_2)
	v_fma_f64 v[4:5], v[4:5], v[0:1], v[14:15]
	v_fma_f64 v[2:3], v[0:1], v[6:7], -v[2:3]
	s_delay_alu instid0(VALU_DEP_2) | instskip(NEXT) | instid1(VALU_DEP_2)
	v_mul_f64 v[0:1], v[4:5], s[6:7]
	v_mul_f64 v[2:3], v[2:3], s[6:7]
	v_add_co_u32 v4, vcc_lo, v12, s2
	v_add_co_ci_u32_e32 v5, vcc_lo, s3, v13, vcc_lo
	s_delay_alu instid0(VALU_DEP_2) | instskip(NEXT) | instid1(VALU_DEP_2)
	v_add_co_u32 v12, vcc_lo, v4, s2
	v_add_co_ci_u32_e32 v13, vcc_lo, s3, v5, vcc_lo
	global_store_b128 v[4:5], v[0:3], off
	s_waitcnt vmcnt(0)
	global_load_b128 v[0:3], v[16:17], off offset:720
	s_waitcnt vmcnt(0) lgkmcnt(0)
	v_mul_f64 v[6:7], v[10:11], v[2:3]
	v_mul_f64 v[2:3], v[8:9], v[2:3]
	s_delay_alu instid0(VALU_DEP_2) | instskip(NEXT) | instid1(VALU_DEP_2)
	v_fma_f64 v[6:7], v[8:9], v[0:1], v[6:7]
	v_fma_f64 v[2:3], v[0:1], v[10:11], -v[2:3]
	s_delay_alu instid0(VALU_DEP_2) | instskip(NEXT) | instid1(VALU_DEP_2)
	v_mul_f64 v[0:1], v[6:7], s[6:7]
	v_mul_f64 v[2:3], v[2:3], s[6:7]
	global_store_b128 v[12:13], v[0:3], off
	global_load_b128 v[0:3], v[16:17], off offset:2400
	ds_load_b128 v[4:7], v182 offset:6496
	ds_load_b128 v[8:11], v182 offset:8176
	s_waitcnt vmcnt(0) lgkmcnt(1)
	v_mul_f64 v[14:15], v[6:7], v[2:3]
	v_mul_f64 v[2:3], v[4:5], v[2:3]
	s_delay_alu instid0(VALU_DEP_2) | instskip(NEXT) | instid1(VALU_DEP_2)
	v_fma_f64 v[4:5], v[4:5], v[0:1], v[14:15]
	v_fma_f64 v[2:3], v[0:1], v[6:7], -v[2:3]
	s_delay_alu instid0(VALU_DEP_2) | instskip(NEXT) | instid1(VALU_DEP_2)
	v_mul_f64 v[0:1], v[4:5], s[6:7]
	v_mul_f64 v[2:3], v[2:3], s[6:7]
	v_add_co_u32 v4, vcc_lo, v12, s2
	v_add_co_ci_u32_e32 v5, vcc_lo, s3, v13, vcc_lo
	s_delay_alu instid0(VALU_DEP_2) | instskip(NEXT) | instid1(VALU_DEP_2)
	v_add_co_u32 v12, vcc_lo, v4, s2
	v_add_co_ci_u32_e32 v13, vcc_lo, s3, v5, vcc_lo
	global_store_b128 v[4:5], v[0:3], off
	global_load_b128 v[0:3], v[16:17], off offset:4080
	scratch_load_b64 v[16:17], off, off offset:24 ; 8-byte Folded Reload
	s_waitcnt vmcnt(1) lgkmcnt(0)
	v_mul_f64 v[6:7], v[10:11], v[2:3]
	v_mul_f64 v[2:3], v[8:9], v[2:3]
	s_delay_alu instid0(VALU_DEP_2) | instskip(NEXT) | instid1(VALU_DEP_2)
	v_fma_f64 v[6:7], v[8:9], v[0:1], v[6:7]
	v_fma_f64 v[2:3], v[0:1], v[10:11], -v[2:3]
	s_delay_alu instid0(VALU_DEP_2) | instskip(NEXT) | instid1(VALU_DEP_2)
	v_mul_f64 v[0:1], v[6:7], s[6:7]
	v_mul_f64 v[2:3], v[2:3], s[6:7]
	global_store_b128 v[12:13], v[0:3], off
	s_waitcnt vmcnt(0)
	global_load_b128 v[0:3], v[16:17], off offset:1664
	ds_load_b128 v[4:7], v182 offset:9856
	ds_load_b128 v[8:11], v182 offset:11536
	s_waitcnt vmcnt(0) lgkmcnt(1)
	v_mul_f64 v[14:15], v[6:7], v[2:3]
	v_mul_f64 v[2:3], v[4:5], v[2:3]
	s_delay_alu instid0(VALU_DEP_2) | instskip(NEXT) | instid1(VALU_DEP_2)
	v_fma_f64 v[4:5], v[4:5], v[0:1], v[14:15]
	v_fma_f64 v[2:3], v[0:1], v[6:7], -v[2:3]
	s_delay_alu instid0(VALU_DEP_2) | instskip(NEXT) | instid1(VALU_DEP_2)
	v_mul_f64 v[0:1], v[4:5], s[6:7]
	v_mul_f64 v[2:3], v[2:3], s[6:7]
	v_add_co_u32 v4, vcc_lo, v12, s2
	v_add_co_ci_u32_e32 v5, vcc_lo, s3, v13, vcc_lo
	s_delay_alu instid0(VALU_DEP_2) | instskip(NEXT) | instid1(VALU_DEP_2)
	v_add_co_u32 v12, vcc_lo, v4, s2
	v_add_co_ci_u32_e32 v13, vcc_lo, s3, v5, vcc_lo
	global_store_b128 v[4:5], v[0:3], off
	global_load_b128 v[0:3], v[16:17], off offset:3344
	scratch_load_b64 v[16:17], off, off offset:32 ; 8-byte Folded Reload
	s_waitcnt vmcnt(1) lgkmcnt(0)
	v_mul_f64 v[6:7], v[10:11], v[2:3]
	v_mul_f64 v[2:3], v[8:9], v[2:3]
	s_delay_alu instid0(VALU_DEP_2) | instskip(NEXT) | instid1(VALU_DEP_2)
	v_fma_f64 v[6:7], v[8:9], v[0:1], v[6:7]
	v_fma_f64 v[2:3], v[0:1], v[10:11], -v[2:3]
	s_delay_alu instid0(VALU_DEP_2) | instskip(NEXT) | instid1(VALU_DEP_2)
	v_mul_f64 v[0:1], v[6:7], s[6:7]
	v_mul_f64 v[2:3], v[2:3], s[6:7]
	global_store_b128 v[12:13], v[0:3], off
	s_waitcnt vmcnt(0)
	;; [unrolled: 31-line block ×3, first 2 shown]
	global_load_b128 v[0:3], v[16:17], off offset:192
	ds_load_b128 v[4:7], v182 offset:16576
	ds_load_b128 v[8:11], v182 offset:18256
	s_waitcnt vmcnt(0) lgkmcnt(1)
	v_mul_f64 v[14:15], v[6:7], v[2:3]
	v_mul_f64 v[2:3], v[4:5], v[2:3]
	s_delay_alu instid0(VALU_DEP_2) | instskip(NEXT) | instid1(VALU_DEP_2)
	v_fma_f64 v[4:5], v[4:5], v[0:1], v[14:15]
	v_fma_f64 v[2:3], v[0:1], v[6:7], -v[2:3]
	s_delay_alu instid0(VALU_DEP_2) | instskip(NEXT) | instid1(VALU_DEP_2)
	v_mul_f64 v[0:1], v[4:5], s[6:7]
	v_mul_f64 v[2:3], v[2:3], s[6:7]
	v_add_co_u32 v4, vcc_lo, v12, s2
	v_add_co_ci_u32_e32 v5, vcc_lo, s3, v13, vcc_lo
	s_delay_alu instid0(VALU_DEP_2) | instskip(NEXT) | instid1(VALU_DEP_2)
	v_add_co_u32 v12, vcc_lo, v4, s2
	v_add_co_ci_u32_e32 v13, vcc_lo, s3, v5, vcc_lo
	global_store_b128 v[4:5], v[0:3], off
	global_load_b128 v[0:3], v[16:17], off offset:1872
	s_waitcnt vmcnt(0) lgkmcnt(0)
	v_mul_f64 v[6:7], v[10:11], v[2:3]
	v_mul_f64 v[2:3], v[8:9], v[2:3]
	s_delay_alu instid0(VALU_DEP_2) | instskip(NEXT) | instid1(VALU_DEP_2)
	v_fma_f64 v[6:7], v[8:9], v[0:1], v[6:7]
	v_fma_f64 v[2:3], v[0:1], v[10:11], -v[2:3]
	s_delay_alu instid0(VALU_DEP_2) | instskip(NEXT) | instid1(VALU_DEP_2)
	v_mul_f64 v[0:1], v[6:7], s[6:7]
	v_mul_f64 v[2:3], v[2:3], s[6:7]
	global_store_b128 v[12:13], v[0:3], off
	global_load_b128 v[0:3], v[16:17], off offset:3552
	ds_load_b128 v[4:7], v182 offset:19936
	ds_load_b128 v[8:11], v182 offset:21616
	s_waitcnt vmcnt(0) lgkmcnt(1)
	v_mul_f64 v[14:15], v[6:7], v[2:3]
	v_mul_f64 v[2:3], v[4:5], v[2:3]
	s_delay_alu instid0(VALU_DEP_2) | instskip(NEXT) | instid1(VALU_DEP_2)
	v_fma_f64 v[4:5], v[4:5], v[0:1], v[14:15]
	v_fma_f64 v[2:3], v[0:1], v[6:7], -v[2:3]
	s_delay_alu instid0(VALU_DEP_2) | instskip(NEXT) | instid1(VALU_DEP_2)
	v_mul_f64 v[0:1], v[4:5], s[6:7]
	v_mul_f64 v[2:3], v[2:3], s[6:7]
	v_add_co_u32 v4, vcc_lo, v12, s2
	v_add_co_ci_u32_e32 v5, vcc_lo, s3, v13, vcc_lo
	global_store_b128 v[4:5], v[0:3], off
	scratch_load_b64 v[0:1], off, off offset:788 ; 8-byte Folded Reload
	v_add_co_u32 v4, vcc_lo, v4, s2
	v_add_co_ci_u32_e32 v5, vcc_lo, s3, v5, vcc_lo
	s_waitcnt vmcnt(0)
	global_load_b128 v[0:3], v[0:1], off offset:1136
	s_waitcnt vmcnt(0) lgkmcnt(0)
	v_mul_f64 v[6:7], v[10:11], v[2:3]
	v_mul_f64 v[2:3], v[8:9], v[2:3]
	s_delay_alu instid0(VALU_DEP_2) | instskip(NEXT) | instid1(VALU_DEP_2)
	v_fma_f64 v[6:7], v[8:9], v[0:1], v[6:7]
	v_fma_f64 v[2:3], v[0:1], v[10:11], -v[2:3]
	s_delay_alu instid0(VALU_DEP_2) | instskip(NEXT) | instid1(VALU_DEP_2)
	v_mul_f64 v[0:1], v[6:7], s[6:7]
	v_mul_f64 v[2:3], v[2:3], s[6:7]
	global_store_b128 v[4:5], v[0:3], off
.LBB0_23:
	s_nop 0
	s_sendmsg sendmsg(MSG_DEALLOC_VGPRS)
	s_endpgm
	.section	.rodata,"a",@progbits
	.p2align	6, 0x0
	.amdhsa_kernel bluestein_single_fwd_len1365_dim1_dp_op_CI_CI
		.amdhsa_group_segment_fixed_size 43680
		.amdhsa_private_segment_fixed_size 892
		.amdhsa_kernarg_size 104
		.amdhsa_user_sgpr_count 15
		.amdhsa_user_sgpr_dispatch_ptr 0
		.amdhsa_user_sgpr_queue_ptr 0
		.amdhsa_user_sgpr_kernarg_segment_ptr 1
		.amdhsa_user_sgpr_dispatch_id 0
		.amdhsa_user_sgpr_private_segment_size 0
		.amdhsa_wavefront_size32 1
		.amdhsa_uses_dynamic_stack 0
		.amdhsa_enable_private_segment 1
		.amdhsa_system_sgpr_workgroup_id_x 1
		.amdhsa_system_sgpr_workgroup_id_y 0
		.amdhsa_system_sgpr_workgroup_id_z 0
		.amdhsa_system_sgpr_workgroup_info 0
		.amdhsa_system_vgpr_workitem_id 0
		.amdhsa_next_free_vgpr 256
		.amdhsa_next_free_sgpr 46
		.amdhsa_reserve_vcc 1
		.amdhsa_float_round_mode_32 0
		.amdhsa_float_round_mode_16_64 0
		.amdhsa_float_denorm_mode_32 3
		.amdhsa_float_denorm_mode_16_64 3
		.amdhsa_dx10_clamp 1
		.amdhsa_ieee_mode 1
		.amdhsa_fp16_overflow 0
		.amdhsa_workgroup_processor_mode 1
		.amdhsa_memory_ordered 1
		.amdhsa_forward_progress 0
		.amdhsa_shared_vgpr_count 0
		.amdhsa_exception_fp_ieee_invalid_op 0
		.amdhsa_exception_fp_denorm_src 0
		.amdhsa_exception_fp_ieee_div_zero 0
		.amdhsa_exception_fp_ieee_overflow 0
		.amdhsa_exception_fp_ieee_underflow 0
		.amdhsa_exception_fp_ieee_inexact 0
		.amdhsa_exception_int_div_zero 0
	.end_amdhsa_kernel
	.text
.Lfunc_end0:
	.size	bluestein_single_fwd_len1365_dim1_dp_op_CI_CI, .Lfunc_end0-bluestein_single_fwd_len1365_dim1_dp_op_CI_CI
                                        ; -- End function
	.section	.AMDGPU.csdata,"",@progbits
; Kernel info:
; codeLenInByte = 39696
; NumSgprs: 48
; NumVgprs: 256
; ScratchSize: 892
; MemoryBound: 0
; FloatMode: 240
; IeeeMode: 1
; LDSByteSize: 43680 bytes/workgroup (compile time only)
; SGPRBlocks: 5
; VGPRBlocks: 31
; NumSGPRsForWavesPerEU: 48
; NumVGPRsForWavesPerEU: 256
; Occupancy: 5
; WaveLimiterHint : 1
; COMPUTE_PGM_RSRC2:SCRATCH_EN: 1
; COMPUTE_PGM_RSRC2:USER_SGPR: 15
; COMPUTE_PGM_RSRC2:TRAP_HANDLER: 0
; COMPUTE_PGM_RSRC2:TGID_X_EN: 1
; COMPUTE_PGM_RSRC2:TGID_Y_EN: 0
; COMPUTE_PGM_RSRC2:TGID_Z_EN: 0
; COMPUTE_PGM_RSRC2:TIDIG_COMP_CNT: 0
	.text
	.p2alignl 7, 3214868480
	.fill 96, 4, 3214868480
	.type	__hip_cuid_227cc3bf698af1e8,@object ; @__hip_cuid_227cc3bf698af1e8
	.section	.bss,"aw",@nobits
	.globl	__hip_cuid_227cc3bf698af1e8
__hip_cuid_227cc3bf698af1e8:
	.byte	0                               ; 0x0
	.size	__hip_cuid_227cc3bf698af1e8, 1

	.ident	"AMD clang version 19.0.0git (https://github.com/RadeonOpenCompute/llvm-project roc-6.4.0 25133 c7fe45cf4b819c5991fe208aaa96edf142730f1d)"
	.section	".note.GNU-stack","",@progbits
	.addrsig
	.addrsig_sym __hip_cuid_227cc3bf698af1e8
	.amdgpu_metadata
---
amdhsa.kernels:
  - .args:
      - .actual_access:  read_only
        .address_space:  global
        .offset:         0
        .size:           8
        .value_kind:     global_buffer
      - .actual_access:  read_only
        .address_space:  global
        .offset:         8
        .size:           8
        .value_kind:     global_buffer
      - .actual_access:  read_only
        .address_space:  global
        .offset:         16
        .size:           8
        .value_kind:     global_buffer
      - .actual_access:  read_only
        .address_space:  global
        .offset:         24
        .size:           8
        .value_kind:     global_buffer
      - .actual_access:  read_only
        .address_space:  global
        .offset:         32
        .size:           8
        .value_kind:     global_buffer
      - .offset:         40
        .size:           8
        .value_kind:     by_value
      - .address_space:  global
        .offset:         48
        .size:           8
        .value_kind:     global_buffer
      - .address_space:  global
        .offset:         56
        .size:           8
        .value_kind:     global_buffer
      - .address_space:  global
        .offset:         64
        .size:           8
        .value_kind:     global_buffer
      - .address_space:  global
        .offset:         72
        .size:           8
        .value_kind:     global_buffer
      - .offset:         80
        .size:           4
        .value_kind:     by_value
      - .address_space:  global
        .offset:         88
        .size:           8
        .value_kind:     global_buffer
      - .address_space:  global
        .offset:         96
        .size:           8
        .value_kind:     global_buffer
    .group_segment_fixed_size: 43680
    .kernarg_segment_align: 8
    .kernarg_segment_size: 104
    .language:       OpenCL C
    .language_version:
      - 2
      - 0
    .max_flat_workgroup_size: 182
    .name:           bluestein_single_fwd_len1365_dim1_dp_op_CI_CI
    .private_segment_fixed_size: 892
    .sgpr_count:     48
    .sgpr_spill_count: 0
    .symbol:         bluestein_single_fwd_len1365_dim1_dp_op_CI_CI.kd
    .uniform_work_group_size: 1
    .uses_dynamic_stack: false
    .vgpr_count:     256
    .vgpr_spill_count: 222
    .wavefront_size: 32
    .workgroup_processor_mode: 1
amdhsa.target:   amdgcn-amd-amdhsa--gfx1100
amdhsa.version:
  - 1
  - 2
...

	.end_amdgpu_metadata
